;; amdgpu-corpus repo=ROCm/rocFFT kind=compiled arch=gfx906 opt=O3
	.text
	.amdgcn_target "amdgcn-amd-amdhsa--gfx906"
	.amdhsa_code_object_version 6
	.protected	fft_rtc_back_len1248_factors_2_2_13_2_3_2_2_wgs_52_tpt_52_halfLds_half_op_CI_CI_unitstride_sbrr_dirReg ; -- Begin function fft_rtc_back_len1248_factors_2_2_13_2_3_2_2_wgs_52_tpt_52_halfLds_half_op_CI_CI_unitstride_sbrr_dirReg
	.globl	fft_rtc_back_len1248_factors_2_2_13_2_3_2_2_wgs_52_tpt_52_halfLds_half_op_CI_CI_unitstride_sbrr_dirReg
	.p2align	8
	.type	fft_rtc_back_len1248_factors_2_2_13_2_3_2_2_wgs_52_tpt_52_halfLds_half_op_CI_CI_unitstride_sbrr_dirReg,@function
fft_rtc_back_len1248_factors_2_2_13_2_3_2_2_wgs_52_tpt_52_halfLds_half_op_CI_CI_unitstride_sbrr_dirReg: ; @fft_rtc_back_len1248_factors_2_2_13_2_3_2_2_wgs_52_tpt_52_halfLds_half_op_CI_CI_unitstride_sbrr_dirReg
; %bb.0:
	s_load_dwordx4 s[8:11], s[4:5], 0x58
	s_load_dwordx4 s[12:15], s[4:5], 0x0
	;; [unrolled: 1-line block ×3, first 2 shown]
	v_mul_u32_u24_e32 v1, 0x4ed, v0
	v_add_u32_sdwa v9, s6, v1 dst_sel:DWORD dst_unused:UNUSED_PAD src0_sel:DWORD src1_sel:WORD_1
	v_mov_b32_e32 v1, 0
	s_waitcnt lgkmcnt(0)
	v_cmp_lt_u64_e64 s[0:1], s[14:15], 2
	v_mov_b32_e32 v7, 0
	v_mov_b32_e32 v10, v1
	s_and_b64 vcc, exec, s[0:1]
	v_mov_b32_e32 v8, 0
	s_cbranch_vccnz .LBB0_8
; %bb.1:
	s_load_dwordx2 s[0:1], s[4:5], 0x10
	s_add_u32 s2, s18, 8
	s_addc_u32 s3, s19, 0
	s_add_u32 s6, s16, 8
	s_addc_u32 s7, s17, 0
	v_mov_b32_e32 v7, 0
	s_waitcnt lgkmcnt(0)
	s_add_u32 s20, s0, 8
	v_mov_b32_e32 v8, 0
	v_mov_b32_e32 v3, v7
	s_addc_u32 s21, s1, 0
	s_mov_b64 s[22:23], 1
	v_mov_b32_e32 v4, v8
.LBB0_2:                                ; =>This Inner Loop Header: Depth=1
	s_load_dwordx2 s[24:25], s[20:21], 0x0
                                        ; implicit-def: $vgpr5_vgpr6
	s_waitcnt lgkmcnt(0)
	v_or_b32_e32 v2, s25, v10
	v_cmp_ne_u64_e32 vcc, 0, v[1:2]
	s_and_saveexec_b64 s[0:1], vcc
	s_xor_b64 s[26:27], exec, s[0:1]
	s_cbranch_execz .LBB0_4
; %bb.3:                                ;   in Loop: Header=BB0_2 Depth=1
	v_cvt_f32_u32_e32 v2, s24
	v_cvt_f32_u32_e32 v5, s25
	s_sub_u32 s0, 0, s24
	s_subb_u32 s1, 0, s25
	v_mac_f32_e32 v2, 0x4f800000, v5
	v_rcp_f32_e32 v2, v2
	v_mul_f32_e32 v2, 0x5f7ffffc, v2
	v_mul_f32_e32 v5, 0x2f800000, v2
	v_trunc_f32_e32 v5, v5
	v_mac_f32_e32 v2, 0xcf800000, v5
	v_cvt_u32_f32_e32 v5, v5
	v_cvt_u32_f32_e32 v2, v2
	v_mul_lo_u32 v6, s0, v5
	v_mul_hi_u32 v11, s0, v2
	v_mul_lo_u32 v13, s1, v2
	v_mul_lo_u32 v12, s0, v2
	v_add_u32_e32 v6, v11, v6
	v_add_u32_e32 v6, v6, v13
	v_mul_hi_u32 v11, v2, v12
	v_mul_lo_u32 v13, v2, v6
	v_mul_hi_u32 v15, v2, v6
	v_mul_hi_u32 v14, v5, v12
	v_mul_lo_u32 v12, v5, v12
	v_mul_hi_u32 v16, v5, v6
	v_add_co_u32_e32 v11, vcc, v11, v13
	v_addc_co_u32_e32 v13, vcc, 0, v15, vcc
	v_mul_lo_u32 v6, v5, v6
	v_add_co_u32_e32 v11, vcc, v11, v12
	v_addc_co_u32_e32 v11, vcc, v13, v14, vcc
	v_addc_co_u32_e32 v12, vcc, 0, v16, vcc
	v_add_co_u32_e32 v6, vcc, v11, v6
	v_addc_co_u32_e32 v11, vcc, 0, v12, vcc
	v_add_co_u32_e32 v2, vcc, v2, v6
	v_addc_co_u32_e32 v5, vcc, v5, v11, vcc
	v_mul_lo_u32 v6, s0, v5
	v_mul_hi_u32 v11, s0, v2
	v_mul_lo_u32 v12, s1, v2
	v_mul_lo_u32 v13, s0, v2
	v_add_u32_e32 v6, v11, v6
	v_add_u32_e32 v6, v6, v12
	v_mul_lo_u32 v14, v2, v6
	v_mul_hi_u32 v15, v2, v13
	v_mul_hi_u32 v16, v2, v6
	v_mul_hi_u32 v12, v5, v13
	v_mul_lo_u32 v13, v5, v13
	v_mul_hi_u32 v11, v5, v6
	v_add_co_u32_e32 v14, vcc, v15, v14
	v_addc_co_u32_e32 v15, vcc, 0, v16, vcc
	v_mul_lo_u32 v6, v5, v6
	v_add_co_u32_e32 v13, vcc, v14, v13
	v_addc_co_u32_e32 v12, vcc, v15, v12, vcc
	v_addc_co_u32_e32 v11, vcc, 0, v11, vcc
	v_add_co_u32_e32 v6, vcc, v12, v6
	v_addc_co_u32_e32 v11, vcc, 0, v11, vcc
	v_add_co_u32_e32 v2, vcc, v2, v6
	v_addc_co_u32_e32 v11, vcc, v5, v11, vcc
	v_mad_u64_u32 v[5:6], s[0:1], v9, v11, 0
	v_mul_hi_u32 v12, v9, v2
	v_add_co_u32_e32 v13, vcc, v12, v5
	v_addc_co_u32_e32 v14, vcc, 0, v6, vcc
	v_mad_u64_u32 v[5:6], s[0:1], v10, v2, 0
	v_mad_u64_u32 v[11:12], s[0:1], v10, v11, 0
	v_add_co_u32_e32 v2, vcc, v13, v5
	v_addc_co_u32_e32 v2, vcc, v14, v6, vcc
	v_addc_co_u32_e32 v5, vcc, 0, v12, vcc
	v_add_co_u32_e32 v2, vcc, v2, v11
	v_addc_co_u32_e32 v11, vcc, 0, v5, vcc
	v_mul_lo_u32 v12, s25, v2
	v_mul_lo_u32 v13, s24, v11
	v_mad_u64_u32 v[5:6], s[0:1], s24, v2, 0
	v_add3_u32 v6, v6, v13, v12
	v_sub_u32_e32 v12, v10, v6
	v_mov_b32_e32 v13, s25
	v_sub_co_u32_e32 v5, vcc, v9, v5
	v_subb_co_u32_e64 v12, s[0:1], v12, v13, vcc
	v_subrev_co_u32_e64 v13, s[0:1], s24, v5
	v_subbrev_co_u32_e64 v12, s[0:1], 0, v12, s[0:1]
	v_cmp_le_u32_e64 s[0:1], s25, v12
	v_cndmask_b32_e64 v14, 0, -1, s[0:1]
	v_cmp_le_u32_e64 s[0:1], s24, v13
	v_cndmask_b32_e64 v13, 0, -1, s[0:1]
	v_cmp_eq_u32_e64 s[0:1], s25, v12
	v_cndmask_b32_e64 v12, v14, v13, s[0:1]
	v_add_co_u32_e64 v13, s[0:1], 2, v2
	v_addc_co_u32_e64 v14, s[0:1], 0, v11, s[0:1]
	v_add_co_u32_e64 v15, s[0:1], 1, v2
	v_addc_co_u32_e64 v16, s[0:1], 0, v11, s[0:1]
	v_subb_co_u32_e32 v6, vcc, v10, v6, vcc
	v_cmp_ne_u32_e64 s[0:1], 0, v12
	v_cmp_le_u32_e32 vcc, s25, v6
	v_cndmask_b32_e64 v12, v16, v14, s[0:1]
	v_cndmask_b32_e64 v14, 0, -1, vcc
	v_cmp_le_u32_e32 vcc, s24, v5
	v_cndmask_b32_e64 v5, 0, -1, vcc
	v_cmp_eq_u32_e32 vcc, s25, v6
	v_cndmask_b32_e32 v5, v14, v5, vcc
	v_cmp_ne_u32_e32 vcc, 0, v5
	v_cndmask_b32_e64 v5, v15, v13, s[0:1]
	v_cndmask_b32_e32 v6, v11, v12, vcc
	v_cndmask_b32_e32 v5, v2, v5, vcc
.LBB0_4:                                ;   in Loop: Header=BB0_2 Depth=1
	s_andn2_saveexec_b64 s[0:1], s[26:27]
	s_cbranch_execz .LBB0_6
; %bb.5:                                ;   in Loop: Header=BB0_2 Depth=1
	v_cvt_f32_u32_e32 v2, s24
	s_sub_i32 s26, 0, s24
	v_rcp_iflag_f32_e32 v2, v2
	v_mul_f32_e32 v2, 0x4f7ffffe, v2
	v_cvt_u32_f32_e32 v2, v2
	v_mul_lo_u32 v5, s26, v2
	v_mul_hi_u32 v5, v2, v5
	v_add_u32_e32 v2, v2, v5
	v_mul_hi_u32 v2, v9, v2
	v_mul_lo_u32 v5, v2, s24
	v_add_u32_e32 v6, 1, v2
	v_sub_u32_e32 v5, v9, v5
	v_subrev_u32_e32 v11, s24, v5
	v_cmp_le_u32_e32 vcc, s24, v5
	v_cndmask_b32_e32 v5, v5, v11, vcc
	v_cndmask_b32_e32 v2, v2, v6, vcc
	v_add_u32_e32 v6, 1, v2
	v_cmp_le_u32_e32 vcc, s24, v5
	v_cndmask_b32_e32 v5, v2, v6, vcc
	v_mov_b32_e32 v6, v1
.LBB0_6:                                ;   in Loop: Header=BB0_2 Depth=1
	s_or_b64 exec, exec, s[0:1]
	v_mul_lo_u32 v2, v6, s24
	v_mul_lo_u32 v13, v5, s25
	v_mad_u64_u32 v[11:12], s[0:1], v5, s24, 0
	s_load_dwordx2 s[0:1], s[6:7], 0x0
	s_load_dwordx2 s[24:25], s[2:3], 0x0
	v_add3_u32 v2, v12, v13, v2
	v_sub_co_u32_e32 v9, vcc, v9, v11
	v_subb_co_u32_e32 v2, vcc, v10, v2, vcc
	s_waitcnt lgkmcnt(0)
	v_mul_lo_u32 v10, s0, v2
	v_mul_lo_u32 v11, s1, v9
	v_mad_u64_u32 v[7:8], s[0:1], s0, v9, v[7:8]
	s_add_u32 s22, s22, 1
	s_addc_u32 s23, s23, 0
	s_add_u32 s2, s2, 8
	v_mul_lo_u32 v2, s24, v2
	v_mul_lo_u32 v12, s25, v9
	v_mad_u64_u32 v[3:4], s[0:1], s24, v9, v[3:4]
	v_add3_u32 v8, v11, v8, v10
	s_addc_u32 s3, s3, 0
	v_mov_b32_e32 v9, s14
	s_add_u32 s6, s6, 8
	v_mov_b32_e32 v10, s15
	s_addc_u32 s7, s7, 0
	v_cmp_ge_u64_e32 vcc, s[22:23], v[9:10]
	s_add_u32 s20, s20, 8
	v_add3_u32 v4, v12, v4, v2
	s_addc_u32 s21, s21, 0
	s_cbranch_vccnz .LBB0_9
; %bb.7:                                ;   in Loop: Header=BB0_2 Depth=1
	v_mov_b32_e32 v10, v6
	v_mov_b32_e32 v9, v5
	s_branch .LBB0_2
.LBB0_8:
	v_mov_b32_e32 v3, v7
	v_mov_b32_e32 v5, v9
	;; [unrolled: 1-line block ×4, first 2 shown]
.LBB0_9:
	s_load_dwordx2 s[0:1], s[4:5], 0x28
	s_lshl_b64 s[6:7], s[14:15], 3
	s_add_u32 s2, s18, s6
	s_addc_u32 s3, s19, s7
                                        ; implicit-def: $sgpr14
                                        ; implicit-def: $vgpr1
	s_waitcnt lgkmcnt(0)
	v_cmp_gt_u64_e32 vcc, s[0:1], v[5:6]
	v_cmp_le_u64_e64 s[0:1], s[0:1], v[5:6]
	s_and_saveexec_b64 s[4:5], s[0:1]
	s_xor_b64 s[0:1], exec, s[4:5]
; %bb.10:
	s_mov_b32 s4, 0x4ec4ec5
	v_mul_hi_u32 v1, v0, s4
	s_mov_b32 s14, 0
                                        ; implicit-def: $vgpr7_vgpr8
	v_mul_u32_u24_e32 v1, 52, v1
	v_sub_u32_e32 v1, v0, v1
                                        ; implicit-def: $vgpr0
; %bb.11:
	s_or_saveexec_b64 s[4:5], s[0:1]
	v_mov_b32_e32 v2, s14
	v_mov_b32_e32 v35, s14
	;; [unrolled: 1-line block ×12, first 2 shown]
                                        ; implicit-def: $vgpr12
                                        ; implicit-def: $vgpr11
                                        ; implicit-def: $vgpr49
                                        ; implicit-def: $vgpr14
                                        ; implicit-def: $vgpr47
                                        ; implicit-def: $vgpr15
                                        ; implicit-def: $vgpr46
                                        ; implicit-def: $vgpr16
                                        ; implicit-def: $vgpr45
                                        ; implicit-def: $vgpr20
                                        ; implicit-def: $vgpr44
                                        ; implicit-def: $vgpr19
                                        ; implicit-def: $vgpr43
                                        ; implicit-def: $vgpr18
                                        ; implicit-def: $vgpr40
                                        ; implicit-def: $vgpr13
                                        ; implicit-def: $vgpr39
                                        ; implicit-def: $vgpr10
                                        ; implicit-def: $vgpr36
                                        ; implicit-def: $vgpr17
                                        ; implicit-def: $vgpr51
                                        ; implicit-def: $vgpr22
                                        ; implicit-def: $vgpr50
                                        ; implicit-def: $vgpr21
	s_xor_b64 exec, exec, s[4:5]
	s_cbranch_execz .LBB0_13
; %bb.12:
	s_add_u32 s0, s16, s6
	s_addc_u32 s1, s17, s7
	s_load_dwordx2 s[0:1], s[0:1], 0x0
	s_mov_b32 s6, 0x4ec4ec5
	v_mul_hi_u32 v1, v0, s6
	v_lshlrev_b64 v[7:8], 2, v[7:8]
	s_waitcnt lgkmcnt(0)
	v_mul_lo_u32 v2, s1, v5
	v_mul_lo_u32 v11, s0, v6
	v_mad_u64_u32 v[9:10], s[0:1], s0, v5, 0
	v_mul_u32_u24_e32 v1, 52, v1
	v_sub_u32_e32 v1, v0, v1
	v_add3_u32 v10, v10, v11, v2
	v_lshlrev_b64 v[9:10], 2, v[9:10]
	v_mov_b32_e32 v0, s9
	v_add_co_u32_e64 v2, s[0:1], s8, v9
	v_addc_co_u32_e64 v0, s[0:1], v0, v10, s[0:1]
	v_add_co_u32_e64 v2, s[0:1], v2, v7
	v_addc_co_u32_e64 v0, s[0:1], v0, v8, s[0:1]
	v_lshlrev_b32_e32 v7, 2, v1
	v_add_co_u32_e64 v7, s[0:1], v2, v7
	v_addc_co_u32_e64 v8, s[0:1], 0, v0, s[0:1]
	s_movk_i32 s0, 0x1000
	v_add_co_u32_e64 v23, s[0:1], s0, v7
	global_load_dword v11, v[7:8], off offset:2496
	global_load_dword v14, v[7:8], off offset:2704
	;; [unrolled: 1-line block ×4, first 2 shown]
	global_load_dword v2, v[7:8], off
	global_load_dword v35, v[7:8], off offset:208
	global_load_dword v32, v[7:8], off offset:416
	;; [unrolled: 1-line block ×7, first 2 shown]
	v_addc_co_u32_e64 v24, s[0:1], 0, v8, s[0:1]
	global_load_dword v37, v[7:8], off offset:1664
	global_load_dword v41, v[7:8], off offset:1872
	;; [unrolled: 1-line block ×12, first 2 shown]
	s_waitcnt vmcnt(23)
	v_lshrrev_b32_e32 v12, 16, v11
	s_waitcnt vmcnt(22)
	v_lshrrev_b32_e32 v49, 16, v14
	;; [unrolled: 2-line block ×12, first 2 shown]
.LBB0_13:
	s_or_b64 exec, exec, s[4:5]
	v_sub_f16_e32 v0, v2, v11
	v_fma_f16 v7, v2, 2.0, -v0
	v_sub_f16_e32 v8, v35, v14
	v_fma_f16 v14, v35, 2.0, -v8
	v_sub_f16_e32 v15, v32, v15
	v_pack_b32_f16 v0, v7, v0
	v_lshl_add_u32 v52, v1, 2, 0
	v_add_u32_e32 v11, 52, v1
	v_fma_f16 v23, v32, 2.0, -v15
	v_sub_f16_e32 v16, v9, v16
	v_sub_f16_e32 v25, v27, v20
	ds_write_b32 v52, v0
	v_pack_b32_f16 v0, v14, v8
	v_lshl_add_u32 v53, v11, 2, 0
	v_add_u32_e32 v20, 0x68, v1
	v_fma_f16 v24, v9, 2.0, -v16
	v_sub_f16_e32 v28, v30, v19
	ds_write_b32 v53, v0
	v_pack_b32_f16 v0, v23, v15
	v_lshl_add_u32 v54, v20, 2, 0
	v_add_u32_e32 v19, 0x9c, v1
	v_fma_f16 v26, v27, 2.0, -v25
	ds_write_b32 v54, v0
	v_pack_b32_f16 v0, v24, v16
	v_lshl_add_u32 v55, v19, 2, 0
	v_add_u32_e32 v16, 0xd0, v1
	v_fma_f16 v29, v30, 2.0, -v28
	ds_write_b32 v55, v0
	v_pack_b32_f16 v0, v26, v25
	v_lshl_add_u32 v56, v16, 2, 0
	v_add_u32_e32 v15, 0x104, v1
	v_sub_f16_e32 v18, v31, v18
	ds_write_b32 v56, v0
	v_pack_b32_f16 v0, v29, v28
	v_lshl_add_u32 v57, v15, 2, 0
	ds_write_b32 v57, v0
	v_fma_f16 v0, v31, 2.0, -v18
	v_add_u32_e32 v14, 0x138, v1
	v_pack_b32_f16 v0, v0, v18
	v_lshl_add_u32 v58, v14, 2, 0
	ds_write_b32 v58, v0
	v_sub_f16_e32 v0, v33, v13
	v_fma_f16 v7, v33, 2.0, -v0
	v_add_u32_e32 v13, 0x16c, v1
	v_pack_b32_f16 v0, v7, v0
	v_lshl_add_u32 v59, v13, 2, 0
	ds_write_b32 v59, v0
	v_sub_f16_e32 v0, v37, v10
	;; [unrolled: 6-line block ×4, first 2 shown]
	v_fma_f16 v7, v42, 2.0, -v0
	v_add_u32_e32 v10, 0x208, v1
	v_pack_b32_f16 v0, v7, v0
	v_lshl_add_u32 v62, v10, 2, 0
	ds_write_b32 v62, v0
	s_waitcnt vmcnt(0)
	v_sub_f16_e32 v0, v48, v21
	v_fma_f16 v7, v48, 2.0, -v0
	v_add_u32_e32 v8, 0x23c, v1
	v_pack_b32_f16 v0, v7, v0
	v_lshl_add_u32 v63, v8, 2, 0
	ds_write_b32 v63, v0
	v_lshrrev_b32_e32 v0, 16, v2
	v_lshrrev_b32_e32 v35, 16, v35
	v_sub_f16_e32 v2, v0, v12
	v_sub_f16_e32 v49, v35, v49
	v_fma_f16 v0, v0, 2.0, -v2
	v_lshlrev_b32_e32 v7, 1, v1
	v_fma_f16 v35, v35, 2.0, -v49
	v_pack_b32_f16 v64, v0, v2
	v_add_u32_e32 v0, 0, v7
	v_pack_b32_f16 v35, v35, v49
	v_lshrrev_b32_e32 v32, 16, v32
	s_load_dwordx2 s[2:3], s[2:3], 0x0
	s_waitcnt lgkmcnt(0)
	; wave barrier
	s_waitcnt lgkmcnt(0)
	ds_read_u16 v12, v0 offset:1456
	ds_read_u16 v2, v0 offset:1560
	ds_read_u16 v65, v0
	ds_read_u16 v71, v0 offset:104
	ds_read_u16 v72, v0 offset:208
	;; [unrolled: 1-line block ×21, first 2 shown]
	s_waitcnt lgkmcnt(0)
	; wave barrier
	s_waitcnt lgkmcnt(0)
	ds_write_b32 v53, v35
	v_sub_f16_e32 v35, v32, v47
	v_fma_f16 v32, v32, 2.0, -v35
	v_pack_b32_f16 v32, v32, v35
	v_lshrrev_b32_e32 v9, 16, v9
	ds_write_b32 v54, v32
	v_sub_f16_e32 v32, v9, v46
	v_fma_f16 v9, v9, 2.0, -v32
	v_pack_b32_f16 v9, v9, v32
	ds_write_b32 v55, v9
	v_lshrrev_b32_e32 v9, 16, v27
	v_sub_f16_e32 v27, v9, v45
	v_fma_f16 v9, v9, 2.0, -v27
	v_pack_b32_f16 v9, v9, v27
	ds_write_b32 v56, v9
	v_lshrrev_b32_e32 v9, 16, v30
	;; [unrolled: 5-line block ×8, first 2 shown]
	v_sub_f16_e32 v27, v9, v50
	v_fma_f16 v9, v9, 2.0, -v27
	v_pack_b32_f16 v9, v9, v27
	v_and_b32_e32 v30, 1, v1
	ds_write_b32 v63, v9
	v_lshlrev_b32_e32 v9, 2, v30
	ds_write_b32 v52, v64
	s_waitcnt lgkmcnt(0)
	; wave barrier
	s_waitcnt lgkmcnt(0)
	global_load_dword v55, v9, s[12:13]
	ds_read_u16 v63, v0 offset:1248
	ds_read_u16 v62, v0 offset:1352
	;; [unrolled: 1-line block ×5, first 2 shown]
	s_movk_i32 s0, 0x7c
	v_and_or_b32 v31, v7, s0, v30
	v_lshl_add_u32 v74, v31, 1, 0
	s_movk_i32 s0, 0xfc
	s_movk_i32 s1, 0x2fc
	s_waitcnt vmcnt(0) lgkmcnt(4)
	v_mul_f16_sdwa v9, v63, v55 dst_sel:DWORD dst_unused:UNUSED_PAD src0_sel:DWORD src1_sel:WORD_1
	v_fma_f16 v9, v38, v55, v9
	v_sub_f16_e32 v9, v65, v9
	v_fma_f16 v27, v65, 2.0, -v9
	ds_read_u16 v59, v0 offset:832
	ds_read_u16 v58, v0 offset:936
	;; [unrolled: 1-line block ×3, first 2 shown]
	ds_read_u16 v73, v0
	ds_read_u16 v70, v0 offset:104
	ds_read_u16 v69, v0 offset:208
	;; [unrolled: 1-line block ×15, first 2 shown]
	s_waitcnt lgkmcnt(0)
	; wave barrier
	s_waitcnt lgkmcnt(0)
	ds_write_b16 v74, v27
	ds_write_b16 v74, v9 offset:4
	v_mul_f16_sdwa v9, v62, v55 dst_sel:DWORD dst_unused:UNUSED_PAD src0_sel:DWORD src1_sel:WORD_1
	v_fma_f16 v9, v34, v55, v9
	v_sub_f16_e32 v27, v71, v9
	v_lshlrev_b32_e32 v9, 1, v11
	v_and_or_b32 v32, v9, s0, v30
	v_fma_f16 v31, v71, 2.0, -v27
	v_lshl_add_u32 v83, v32, 1, 0
	ds_write_b16 v83, v31
	ds_write_b16 v83, v27 offset:4
	v_mul_f16_sdwa v27, v61, v55 dst_sel:DWORD dst_unused:UNUSED_PAD src0_sel:DWORD src1_sel:WORD_1
	v_fma_f16 v27, v12, v55, v27
	s_movk_i32 s0, 0x1fc
	v_lshlrev_b32_e32 v32, 1, v20
	v_sub_f16_e32 v27, v72, v27
	v_and_or_b32 v32, v32, s0, v30
	v_fma_f16 v31, v72, 2.0, -v27
	v_lshl_add_u32 v84, v32, 1, 0
	ds_write_b16 v84, v31
	ds_write_b16 v84, v27 offset:4
	v_mul_f16_sdwa v27, v60, v55 dst_sel:DWORD dst_unused:UNUSED_PAD src0_sel:DWORD src1_sel:WORD_1
	v_fma_f16 v27, v2, v55, v27
	v_lshlrev_b32_e32 v32, 1, v19
	v_sub_f16_e32 v27, v85, v27
	v_and_or_b32 v32, v32, s0, v30
	v_fma_f16 v31, v85, 2.0, -v27
	v_lshl_add_u32 v85, v32, 1, 0
	ds_write_b16 v85, v31
	ds_write_b16 v85, v27 offset:4
	v_mul_f16_sdwa v27, v82, v55 dst_sel:DWORD dst_unused:UNUSED_PAD src0_sel:DWORD src1_sel:WORD_1
	v_fma_f16 v27, v29, v55, v27
	s_movk_i32 s0, 0x3fc
	v_lshlrev_b32_e32 v32, 1, v16
	v_sub_f16_e32 v27, v86, v27
	v_and_or_b32 v32, v32, s0, v30
	v_fma_f16 v31, v86, 2.0, -v27
	v_lshl_add_u32 v86, v32, 1, 0
	ds_write_b16 v86, v31
	ds_write_b16 v86, v27 offset:4
	v_mul_f16_sdwa v27, v81, v55 dst_sel:DWORD dst_unused:UNUSED_PAD src0_sel:DWORD src1_sel:WORD_1
	v_fma_f16 v27, v28, v55, v27
	v_lshlrev_b32_e32 v32, 1, v15
	v_sub_f16_e32 v27, v87, v27
	v_and_or_b32 v32, v32, s1, v30
	v_fma_f16 v31, v87, 2.0, -v27
	v_lshl_add_u32 v87, v32, 1, 0
	ds_write_b16 v87, v31
	ds_write_b16 v87, v27 offset:4
	v_mul_f16_sdwa v27, v80, v55 dst_sel:DWORD dst_unused:UNUSED_PAD src0_sel:DWORD src1_sel:WORD_1
	v_fma_f16 v27, v26, v55, v27
	v_lshlrev_b32_e32 v32, 1, v14
	v_sub_f16_e32 v27, v88, v27
	v_and_or_b32 v32, v32, s1, v30
	v_fma_f16 v31, v88, 2.0, -v27
	v_lshl_add_u32 v88, v32, 1, 0
	ds_write_b16 v88, v31
	v_lshlrev_b32_e32 v31, 1, v13
	v_and_or_b32 v39, v31, s0, v30
	v_lshlrev_b32_e32 v31, 1, v18
	v_and_or_b32 v42, v31, s0, v30
	s_movk_i32 s0, 0x7fc
	v_lshlrev_b32_e32 v31, 1, v17
	v_and_or_b32 v43, v31, s0, v30
	s_movk_i32 s0, 0x4fc
	v_lshlrev_b32_e32 v31, 1, v10
	v_and_or_b32 v45, v31, s0, v30
	v_lshlrev_b32_e32 v31, 1, v8
	v_and_or_b32 v47, v31, s0, v30
	v_mul_f16_sdwa v30, v79, v55 dst_sel:DWORD dst_unused:UNUSED_PAD src0_sel:DWORD src1_sel:WORD_1
	v_mul_f16_sdwa v31, v78, v55 dst_sel:DWORD dst_unused:UNUSED_PAD src0_sel:DWORD src1_sel:WORD_1
	;; [unrolled: 1-line block ×5, first 2 shown]
	v_fma_f16 v30, v25, v55, v30
	v_fma_f16 v31, v24, v55, v31
	;; [unrolled: 1-line block ×5, first 2 shown]
	v_sub_f16_e32 v30, v89, v30
	v_sub_f16_e32 v31, v90, v31
	v_sub_f16_e32 v32, v91, v32
	v_sub_f16_e32 v33, v92, v33
	v_sub_f16_e32 v37, v93, v36
	v_fma_f16 v35, v89, 2.0, -v30
	v_fma_f16 v40, v90, 2.0, -v31
	;; [unrolled: 1-line block ×5, first 2 shown]
	v_lshl_add_u32 v89, v39, 1, 0
	v_lshl_add_u32 v90, v42, 1, 0
	;; [unrolled: 1-line block ×5, first 2 shown]
	ds_write_b16 v88, v27 offset:4
	ds_write_b16 v89, v35
	ds_write_b16 v89, v30 offset:4
	ds_write_b16 v90, v40
	;; [unrolled: 2-line block ×5, first 2 shown]
	ds_write_b16 v93, v37 offset:4
	s_waitcnt lgkmcnt(0)
	; wave barrier
	s_waitcnt lgkmcnt(0)
	ds_read_u16 v71, v0
	ds_read_u16 v54, v0 offset:192
	ds_read_u16 v52, v0 offset:384
	;; [unrolled: 1-line block ×12, first 2 shown]
	v_cmp_gt_u32_e64 s[0:1], 44, v1
                                        ; implicit-def: $vgpr45
                                        ; implicit-def: $vgpr72
	s_and_saveexec_b64 s[4:5], s[0:1]
	s_cbranch_execz .LBB0_15
; %bb.14:
	ds_read_u16 v27, v0 offset:104
	ds_read_u16 v35, v0 offset:296
	;; [unrolled: 1-line block ×13, first 2 shown]
.LBB0_15:
	s_or_b64 exec, exec, s[4:5]
	v_mul_f16_sdwa v34, v34, v55 dst_sel:DWORD dst_unused:UNUSED_PAD src0_sel:DWORD src1_sel:WORD_1
	v_mul_f16_sdwa v38, v38, v55 dst_sel:DWORD dst_unused:UNUSED_PAD src0_sel:DWORD src1_sel:WORD_1
	v_fma_f16 v34, v62, v55, -v34
	v_mul_f16_sdwa v12, v12, v55 dst_sel:DWORD dst_unused:UNUSED_PAD src0_sel:DWORD src1_sel:WORD_1
	v_mul_f16_sdwa v28, v28, v55 dst_sel:DWORD dst_unused:UNUSED_PAD src0_sel:DWORD src1_sel:WORD_1
	;; [unrolled: 1-line block ×3, first 2 shown]
	v_fma_f16 v38, v63, v55, -v38
	v_fma_f16 v12, v61, v55, -v12
	v_mul_f16_sdwa v2, v2, v55 dst_sel:DWORD dst_unused:UNUSED_PAD src0_sel:DWORD src1_sel:WORD_1
	v_mul_f16_sdwa v29, v29, v55 dst_sel:DWORD dst_unused:UNUSED_PAD src0_sel:DWORD src1_sel:WORD_1
	v_fma_f16 v28, v81, v55, -v28
	v_fma_f16 v26, v80, v55, -v26
	v_mul_f16_sdwa v25, v25, v55 dst_sel:DWORD dst_unused:UNUSED_PAD src0_sel:DWORD src1_sel:WORD_1
	v_mul_f16_sdwa v24, v24, v55 dst_sel:DWORD dst_unused:UNUSED_PAD src0_sel:DWORD src1_sel:WORD_1
	;; [unrolled: 1-line block ×5, first 2 shown]
	v_sub_f16_e32 v34, v70, v34
	v_fma_f16 v2, v60, v55, -v2
	v_fma_f16 v29, v82, v55, -v29
	;; [unrolled: 1-line block ×7, first 2 shown]
	v_sub_f16_e32 v38, v73, v38
	v_fma_f16 v63, v70, 2.0, -v34
	v_sub_f16_e32 v70, v69, v12
	v_sub_f16_e32 v77, v66, v28
	;; [unrolled: 1-line block ×3, first 2 shown]
	v_fma_f16 v62, v73, 2.0, -v38
	v_fma_f16 v69, v69, 2.0, -v70
	v_sub_f16_e32 v2, v68, v2
	v_sub_f16_e32 v76, v67, v29
	v_fma_f16 v66, v66, 2.0, -v77
	v_fma_f16 v65, v65, 2.0, -v12
	v_sub_f16_e32 v21, v64, v25
	v_sub_f16_e32 v22, v59, v60
	;; [unrolled: 1-line block ×5, first 2 shown]
	v_fma_f16 v68, v68, 2.0, -v2
	v_fma_f16 v67, v67, 2.0, -v76
	;; [unrolled: 1-line block ×7, first 2 shown]
	s_waitcnt lgkmcnt(0)
	; wave barrier
	s_waitcnt lgkmcnt(0)
	ds_write_b16 v74, v62
	ds_write_b16 v74, v38 offset:4
	ds_write_b16 v83, v63
	ds_write_b16 v83, v34 offset:4
	;; [unrolled: 2-line block ×12, first 2 shown]
	s_waitcnt lgkmcnt(0)
	; wave barrier
	s_waitcnt lgkmcnt(0)
	ds_read_u16 v46, v0
	ds_read_u16 v60, v0 offset:192
	ds_read_u16 v59, v0 offset:384
	;; [unrolled: 1-line block ×12, first 2 shown]
                                        ; implicit-def: $vgpr74
                                        ; implicit-def: $vgpr76
	s_and_saveexec_b64 s[4:5], s[0:1]
	s_cbranch_execz .LBB0_17
; %bb.16:
	ds_read_u16 v12, v0 offset:104
	ds_read_u16 v24, v0 offset:296
	;; [unrolled: 1-line block ×13, first 2 shown]
.LBB0_17:
	s_or_b64 exec, exec, s[4:5]
	v_and_b32_e32 v2, 3, v1
	v_mul_u32_u24_e32 v63, 12, v2
	v_lshlrev_b32_e32 v63, 2, v63
	global_load_dwordx4 v[77:80], v63, s[12:13] offset:8
	global_load_dwordx4 v[81:84], v63, s[12:13] offset:24
	;; [unrolled: 1-line block ×3, first 2 shown]
	s_movk_i32 s22, 0x3b15
	s_movk_i32 s23, 0x388b
	;; [unrolled: 1-line block ×3, first 2 shown]
	s_mov_b32 s25, 0xb5ac
	s_mov_b32 s26, 0xb9fd
	;; [unrolled: 1-line block ×9, first 2 shown]
	s_movk_i32 s17, 0x394e
	s_movk_i32 s16, 0x3bf1
	s_movk_i32 s18, 0x3770
	s_movk_i32 s19, 0x3b7b
	s_movk_i32 s21, 0x33a8
	s_movk_i32 s20, 0x3a95
	v_lshrrev_b32_e32 v11, 2, v11
	s_waitcnt lgkmcnt(0)
	; wave barrier
	s_waitcnt vmcnt(2) lgkmcnt(0)
	v_mul_f16_sdwa v63, v60, v77 dst_sel:DWORD dst_unused:UNUSED_PAD src0_sel:DWORD src1_sel:WORD_1
	v_mul_f16_sdwa v64, v54, v77 dst_sel:DWORD dst_unused:UNUSED_PAD src0_sel:DWORD src1_sel:WORD_1
	;; [unrolled: 1-line block ×5, first 2 shown]
	s_waitcnt vmcnt(1)
	v_mul_f16_sdwa v94, v69, v81 dst_sel:DWORD dst_unused:UNUSED_PAD src0_sel:DWORD src1_sel:WORD_1
	v_mul_f16_sdwa v95, v48, v81 dst_sel:DWORD dst_unused:UNUSED_PAD src0_sel:DWORD src1_sel:WORD_1
	;; [unrolled: 1-line block ×3, first 2 shown]
	s_waitcnt vmcnt(0)
	v_mul_f16_sdwa v107, v42, v87 dst_sel:DWORD dst_unused:UNUSED_PAD src0_sel:DWORD src1_sel:WORD_1
	v_mul_f16_sdwa v108, v34, v88 dst_sel:DWORD dst_unused:UNUSED_PAD src0_sel:DWORD src1_sel:WORD_1
	;; [unrolled: 1-line block ×18, first 2 shown]
	v_fma_f16 v67, v54, v77, v63
	v_fma_f16 v68, v60, v77, -v64
	v_fma_f16 v63, v52, v78, v70
	v_fma_f16 v64, v59, v78, -v89
	v_fma_f16 v59, v51, v79, v90
	v_fma_f16 v51, v48, v81, v94
	v_fma_f16 v52, v69, v81, -v95
	v_fma_f16 v48, v66, v82, -v97
	;; [unrolled: 1-line block ×3, first 2 shown]
	v_fma_f16 v69, v39, v88, v108
	v_fma_f16 v38, v30, v78, v112
	v_fma_f16 v39, v21, v78, -v113
	v_fma_f16 v30, v31, v80, v116
	v_fma_f16 v31, v22, v80, -v117
	v_fma_f16 v21, v32, v82, v120
	v_fma_f16 v22, v23, v82, -v121
	v_fma_f16 v23, v44, v83, v122
	v_mul_f16_sdwa v32, v75, v85 dst_sel:DWORD dst_unused:UNUSED_PAD src0_sel:DWORD src1_sel:WORD_1
	v_mul_f16_sdwa v44, v74, v88 dst_sel:DWORD dst_unused:UNUSED_PAD src0_sel:DWORD src1_sel:WORD_1
	;; [unrolled: 1-line block ×6, first 2 shown]
	v_fma_f16 v54, v61, v84, -v101
	v_fma_f16 v61, v43, v86, v104
	v_fma_f16 v70, v34, v88, -v109
	v_fma_f16 v43, v24, v77, -v111
	;; [unrolled: 1-line block ×3, first 2 shown]
	v_fma_f16 v28, v33, v84, v124
	v_fma_f16 v32, v36, v85, v32
	v_mul_f16_sdwa v33, v36, v85 dst_sel:DWORD dst_unused:UNUSED_PAD src0_sel:DWORD src1_sel:WORD_1
	v_mul_f16_sdwa v36, v73, v86 dst_sel:DWORD dst_unused:UNUSED_PAD src0_sel:DWORD src1_sel:WORD_1
	v_fma_f16 v44, v45, v88, v44
	v_mul_f16_sdwa v45, v45, v88 dst_sel:DWORD dst_unused:UNUSED_PAD src0_sel:DWORD src1_sel:WORD_1
	v_mul_f16_sdwa v92, v56, v80 dst_sel:DWORD dst_unused:UNUSED_PAD src0_sel:DWORD src1_sel:WORD_1
	;; [unrolled: 1-line block ×8, first 2 shown]
	v_fma_f16 v36, v37, v86, v36
	v_mul_f16_sdwa v37, v37, v86 dst_sel:DWORD dst_unused:UNUSED_PAD src0_sel:DWORD src1_sel:WORD_1
	v_fma_f16 v45, v74, v88, -v45
	v_sub_f16_e32 v74, v68, v70
	v_mul_f16_sdwa v93, v50, v80 dst_sel:DWORD dst_unused:UNUSED_PAD src0_sel:DWORD src1_sel:WORD_1
	v_mul_f16_sdwa v102, v58, v85 dst_sel:DWORD dst_unused:UNUSED_PAD src0_sel:DWORD src1_sel:WORD_1
	;; [unrolled: 1-line block ×3, first 2 shown]
	v_fma_f16 v60, v55, v79, -v91
	v_fma_f16 v55, v50, v80, v92
	v_fma_f16 v49, v49, v83, v98
	v_fma_f16 v50, v65, v83, -v99
	v_fma_f16 v65, v42, v87, v106
	v_fma_f16 v42, v35, v77, v110
	;; [unrolled: 1-line block ×3, first 2 shown]
	v_fma_f16 v35, v25, v79, -v115
	v_fma_f16 v25, v41, v81, v118
	v_fma_f16 v26, v26, v81, -v119
	v_fma_f16 v33, v75, v85, -v33
	;; [unrolled: 1-line block ×3, first 2 shown]
	v_mul_f16_sdwa v41, v72, v87 dst_sel:DWORD dst_unused:UNUSED_PAD src0_sel:DWORD src1_sel:WORD_1
	v_add_f16_e32 v73, v67, v69
	v_mul_f16_e32 v75, 0xb770, v74
	v_mul_f16_e32 v77, 0xba95, v74
	;; [unrolled: 1-line block ×6, first 2 shown]
	v_fma_f16 v56, v56, v80, -v93
	v_fma_f16 v47, v47, v82, v96
	v_fma_f16 v53, v53, v84, v100
	;; [unrolled: 1-line block ×3, first 2 shown]
	v_fma_f16 v58, v58, v85, -v103
	v_fma_f16 v29, v29, v84, -v125
	v_mul_f16_sdwa v40, v76, v87 dst_sel:DWORD dst_unused:UNUSED_PAD src0_sel:DWORD src1_sel:WORD_1
	v_fma_f16 v41, v76, v87, -v41
	v_fma_f16 v76, v73, s22, v75
	v_fma_f16 v75, v73, s22, -v75
	v_fma_f16 v78, v73, s23, v77
	v_fma_f16 v77, v73, s23, -v77
	v_fma_f16 v80, v73, s24, v79
	v_fma_f16 v79, v73, s24, -v79
	v_fma_f16 v82, v73, s25, v81
	v_fma_f16 v81, v73, s25, -v81
	v_fma_f16 v84, v73, s26, v83
	v_fma_f16 v83, v73, s26, -v83
	v_fma_f16 v85, v73, s27, v74
	v_fma_f16 v73, v73, s27, -v74
	v_sub_f16_e32 v74, v64, v66
	v_fma_f16 v62, v62, v86, -v105
	v_fma_f16 v40, v72, v87, v40
	v_add_f16_e32 v72, v71, v67
	v_add_f16_e32 v76, v71, v76
	;; [unrolled: 1-line block ×14, first 2 shown]
	v_mul_f16_e32 v86, 0xba95, v74
	v_fma_f16 v87, v73, s23, v86
	v_fma_f16 v86, v73, s23, -v86
	v_add_f16_e32 v75, v86, v75
	v_mul_f16_e32 v86, 0xbb7b, v74
	v_add_f16_e32 v76, v87, v76
	v_fma_f16 v87, v73, s25, v86
	v_fma_f16 v86, v73, s25, -v86
	v_add_f16_e32 v77, v86, v77
	v_mul_f16_e32 v86, 0xb3a8, v74
	v_add_f16_e32 v78, v87, v78
	v_fma_f16 v87, v73, s27, v86
	v_fma_f16 v86, v73, s27, -v86
	v_add_f16_e32 v79, v86, v79
	v_mul_f16_e32 v86, 0x394e, v74
	v_add_f16_e32 v80, v87, v80
	v_fma_f16 v87, v73, s26, v86
	v_fma_f16 v86, v73, s26, -v86
	v_add_f16_e32 v81, v86, v81
	v_mul_f16_e32 v86, 0x3bf1, v74
	v_add_f16_e32 v82, v87, v82
	v_fma_f16 v87, v73, s24, v86
	v_fma_f16 v86, v73, s24, -v86
	v_mul_f16_e32 v74, 0x3770, v74
	v_add_f16_e32 v83, v86, v83
	v_fma_f16 v86, v73, s22, v74
	v_fma_f16 v73, v73, s22, -v74
	v_sub_f16_e32 v74, v60, v62
	v_add_f16_e32 v85, v86, v85
	v_add_f16_e32 v71, v73, v71
	v_add_f16_e32 v73, v59, v61
	v_mul_f16_e32 v86, 0xbbf1, v74
	v_add_f16_e32 v84, v87, v84
	v_fma_f16 v87, v73, s24, v86
	v_fma_f16 v86, v73, s24, -v86
	v_add_f16_e32 v75, v86, v75
	v_mul_f16_e32 v86, 0xb3a8, v74
	v_add_f16_e32 v76, v87, v76
	v_fma_f16 v87, v73, s27, v86
	v_fma_f16 v86, v73, s27, -v86
	v_add_f16_e32 v77, v86, v77
	v_mul_f16_e32 v86, 0x3b7b, v74
	v_add_f16_e32 v78, v87, v78
	v_fma_f16 v87, v73, s25, v86
	v_fma_f16 v86, v73, s25, -v86
	v_add_f16_e32 v79, v86, v79
	v_mul_f16_e32 v86, 0x3770, v74
	v_add_f16_e32 v80, v87, v80
	v_fma_f16 v87, v73, s22, v86
	v_fma_f16 v86, v73, s22, -v86
	v_add_f16_e32 v81, v86, v81
	v_mul_f16_e32 v86, 0xba95, v74
	v_add_f16_e32 v82, v87, v82
	v_fma_f16 v87, v73, s23, v86
	v_fma_f16 v86, v73, s23, -v86
	v_mul_f16_e32 v74, 0xb94e, v74
	v_add_f16_e32 v83, v86, v83
	v_fma_f16 v86, v73, s26, v74
	v_fma_f16 v73, v73, s26, -v74
	v_sub_f16_e32 v74, v56, v58
	v_add_f16_e32 v85, v86, v85
	v_add_f16_e32 v71, v73, v71
	v_add_f16_e32 v73, v55, v57
	v_mul_f16_e32 v86, 0xbb7b, v74
	v_add_f16_e32 v84, v87, v84
	;; [unrolled: 32-line block ×4, first 2 shown]
	v_fma_f16 v87, v73, s27, v86
	v_fma_f16 v86, v73, s27, -v86
	v_add_f16_e32 v75, v86, v75
	v_mul_f16_e32 v86, 0x3770, v74
	v_add_f16_e32 v76, v87, v76
	v_fma_f16 v87, v73, s22, v86
	v_fma_f16 v86, v73, s22, -v86
	v_add_f16_e32 v72, v72, v63
	v_add_f16_e32 v77, v86, v77
	v_mul_f16_e32 v86, 0xb94e, v74
	v_add_f16_e32 v72, v72, v59
	v_add_f16_e32 v78, v87, v78
	v_fma_f16 v87, v73, s26, v86
	v_fma_f16 v86, v73, s26, -v86
	v_add_f16_e32 v72, v72, v55
	v_add_f16_e32 v79, v86, v79
	v_mul_f16_e32 v86, 0x3a95, v74
	v_add_f16_e32 v72, v72, v51
	;; [unrolled: 7-line block ×3, first 2 shown]
	v_add_f16_e32 v82, v87, v82
	v_fma_f16 v87, v73, s25, v86
	v_fma_f16 v86, v73, s25, -v86
	v_mul_f16_e32 v74, 0x3bf1, v74
	v_add_f16_e32 v72, v72, v53
	v_add_f16_e32 v83, v86, v83
	v_fma_f16 v86, v73, s24, v74
	v_fma_f16 v73, v73, s24, -v74
	v_add_f16_e32 v72, v72, v57
	v_add_f16_e32 v73, v73, v71
	v_lshrrev_b32_e32 v71, 2, v1
	v_add_f16_e32 v72, v72, v61
	v_mul_u32_u24_e32 v71, 52, v71
	v_add_f16_e32 v72, v72, v65
	v_or_b32_e32 v71, v71, v2
	v_add_f16_e32 v72, v72, v69
	v_lshl_add_u32 v71, v71, 1, 0
	v_add_f16_e32 v84, v87, v84
	v_add_f16_e32 v85, v86, v85
	ds_write_b16 v71, v72
	ds_write_b16 v71, v76 offset:8
	ds_write_b16 v71, v78 offset:16
	;; [unrolled: 1-line block ×12, first 2 shown]
	s_and_saveexec_b64 s[4:5], s[0:1]
	s_cbranch_execz .LBB0_19
; %bb.18:
	v_sub_f16_e32 v74, v43, v45
	v_add_f16_e32 v73, v42, v44
	v_mul_f16_e32 v75, 0xb3a8, v74
	v_sub_f16_e32 v78, v39, v41
	v_fma_f16 v76, v73, s27, -v75
	v_add_f16_e32 v77, v38, v40
	v_mul_f16_e32 v79, 0x3770, v78
	v_add_f16_e32 v76, v27, v76
	v_fma_f16 v80, v77, s22, -v79
	v_sub_f16_e32 v81, v35, v37
	v_add_f16_e32 v76, v80, v76
	v_add_f16_e32 v80, v34, v36
	v_mul_f16_e32 v82, 0xb94e, v81
	v_fma_f16 v83, v80, s26, -v82
	v_sub_f16_e32 v84, v31, v33
	v_add_f16_e32 v76, v83, v76
	v_add_f16_e32 v83, v30, v32
	v_mul_f16_e32 v85, 0x3a95, v84
	v_fma_f16 v75, v73, s27, v75
	v_fma_f16 v86, v83, s23, -v85
	v_sub_f16_e32 v87, v26, v29
	v_add_f16_e32 v75, v27, v75
	v_fma_f16 v79, v77, s22, v79
	v_add_f16_e32 v76, v86, v76
	v_add_f16_e32 v86, v25, v28
	v_mul_f16_e32 v88, 0xbb7b, v87
	v_add_f16_e32 v75, v79, v75
	v_fma_f16 v79, v80, s26, v82
	v_fma_f16 v89, v86, s25, -v88
	v_sub_f16_e32 v90, v22, v24
	v_add_f16_e32 v75, v79, v75
	v_fma_f16 v79, v83, s23, v85
	v_add_f16_e32 v76, v89, v76
	v_add_f16_e32 v89, v21, v23
	v_mul_f16_e32 v91, 0x3bf1, v90
	v_add_f16_e32 v75, v79, v75
	v_fma_f16 v79, v86, s25, v88
	v_add_f16_e32 v75, v79, v75
	v_fma_f16 v79, v89, s24, v91
	v_add_f16_e32 v75, v79, v75
	v_mul_f16_e32 v79, 0xb94e, v74
	v_fma_f16 v82, v73, s26, -v79
	v_mul_f16_e32 v85, 0x3bf1, v78
	v_add_f16_e32 v82, v27, v82
	v_fma_f16 v88, v77, s24, -v85
	v_add_f16_e32 v82, v88, v82
	v_mul_f16_e32 v88, 0xba95, v81
	v_fma_f16 v92, v89, s24, -v91
	v_fma_f16 v91, v80, s23, -v88
	v_add_f16_e32 v82, v91, v82
	v_mul_f16_e32 v91, 0x33a8, v84
	v_fma_f16 v79, v73, s26, v79
	v_add_f16_e32 v76, v92, v76
	v_fma_f16 v92, v83, s27, -v91
	v_add_f16_e32 v79, v27, v79
	v_fma_f16 v85, v77, s24, v85
	v_add_f16_e32 v82, v92, v82
	v_mul_f16_e32 v92, 0x3770, v87
	v_add_f16_e32 v79, v85, v79
	v_fma_f16 v85, v80, s23, v88
	v_fma_f16 v93, v86, s22, -v92
	v_add_f16_e32 v79, v85, v79
	v_fma_f16 v85, v83, s27, v91
	v_add_f16_e32 v82, v93, v82
	v_mul_f16_e32 v93, 0xbb7b, v90
	v_add_f16_e32 v79, v85, v79
	v_fma_f16 v85, v86, s22, v92
	v_add_f16_e32 v79, v85, v79
	v_fma_f16 v85, v89, s25, v93
	v_add_f16_e32 v79, v85, v79
	v_mul_f16_e32 v85, 0xbb7b, v74
	v_fma_f16 v88, v73, s25, -v85
	v_mul_f16_e32 v91, 0x394e, v78
	v_add_f16_e32 v88, v27, v88
	v_fma_f16 v92, v77, s26, -v91
	v_add_f16_e32 v88, v92, v88
	v_mul_f16_e32 v92, 0x3770, v81
	v_fma_f16 v94, v89, s25, -v93
	v_fma_f16 v93, v80, s22, -v92
	v_add_f16_e32 v88, v93, v88
	v_mul_f16_e32 v93, 0xbbf1, v84
	v_fma_f16 v85, v73, s25, v85
	v_add_f16_e32 v82, v94, v82
	v_fma_f16 v94, v83, s24, -v93
	v_add_f16_e32 v85, v27, v85
	v_fma_f16 v91, v77, s26, v91
	v_add_f16_e32 v88, v94, v88
	v_mul_f16_e32 v94, 0x33a8, v87
	v_add_f16_e32 v85, v91, v85
	v_fma_f16 v91, v80, s22, v92
	v_fma_f16 v95, v86, s27, -v94
	v_add_f16_e32 v85, v91, v85
	v_fma_f16 v91, v83, s24, v93
	;; [unrolled: 30-line block ×3, first 2 shown]
	v_add_f16_e32 v92, v97, v92
	v_mul_f16_e32 v97, 0xb94e, v90
	v_add_f16_e32 v91, v93, v91
	v_fma_f16 v93, v86, s23, v96
	v_add_f16_e32 v91, v93, v91
	v_fma_f16 v93, v89, s26, v97
	v_add_f16_e32 v91, v93, v91
	v_mul_f16_e32 v93, 0xba95, v74
	v_fma_f16 v94, v73, s23, -v93
	v_mul_f16_e32 v95, 0xbb7b, v78
	v_add_f16_e32 v94, v27, v94
	v_fma_f16 v96, v77, s25, -v95
	v_add_f16_e32 v94, v96, v94
	v_mul_f16_e32 v96, 0xb3a8, v81
	v_fma_f16 v98, v89, s26, -v97
	v_fma_f16 v97, v80, s27, -v96
	v_add_f16_e32 v94, v97, v94
	v_mul_f16_e32 v97, 0x394e, v84
	v_fma_f16 v93, v73, s23, v93
	v_add_f16_e32 v92, v98, v92
	v_fma_f16 v98, v83, s26, -v97
	v_add_f16_e32 v93, v27, v93
	v_fma_f16 v95, v77, s25, v95
	v_add_f16_e32 v94, v98, v94
	v_mul_f16_e32 v98, 0x3bf1, v87
	v_add_f16_e32 v93, v95, v93
	v_fma_f16 v95, v80, s27, v96
	v_add_f16_e32 v72, v27, v42
	v_fma_f16 v99, v86, s24, -v98
	v_add_f16_e32 v93, v95, v93
	v_fma_f16 v95, v83, s26, v97
	v_add_f16_e32 v72, v72, v38
	v_add_f16_e32 v94, v99, v94
	v_mul_f16_e32 v99, 0x3770, v90
	v_add_f16_e32 v93, v95, v93
	v_fma_f16 v95, v86, s24, v98
	v_add_f16_e32 v72, v72, v34
	v_add_f16_e32 v93, v95, v93
	v_fma_f16 v95, v89, s22, v99
	v_mul_f16_e32 v74, 0xb770, v74
	v_add_f16_e32 v72, v72, v30
	v_add_f16_e32 v93, v95, v93
	v_fma_f16 v95, v73, s22, -v74
	v_mul_f16_e32 v78, 0xba95, v78
	v_fma_f16 v73, v73, s22, v74
	v_add_f16_e32 v72, v72, v25
	v_add_f16_e32 v95, v27, v95
	v_mul_f16_e32 v81, 0xbbf1, v81
	v_add_f16_e32 v27, v27, v73
	v_fma_f16 v73, v77, s23, v78
	v_add_f16_e32 v72, v72, v21
	v_mul_f16_e32 v84, 0xbb7b, v84
	v_add_f16_e32 v27, v73, v27
	v_fma_f16 v73, v80, s24, v81
	;; [unrolled: 4-line block ×3, first 2 shown]
	v_add_f16_e32 v72, v72, v28
	v_fma_f16 v96, v77, s23, -v78
	v_mul_f16_e32 v90, 0xb3a8, v90
	v_add_f16_e32 v27, v73, v27
	v_fma_f16 v73, v86, s26, v87
	v_add_f16_e32 v72, v72, v32
	v_add_f16_e32 v95, v96, v95
	v_fma_f16 v96, v80, s24, -v81
	v_add_f16_e32 v27, v73, v27
	v_fma_f16 v73, v89, s27, v90
	v_add_f16_e32 v72, v72, v36
	v_add_f16_e32 v95, v96, v95
	v_fma_f16 v96, v83, s25, -v84
	v_add_f16_e32 v27, v73, v27
	v_mul_u32_u24_e32 v73, 52, v11
	v_add_f16_e32 v72, v72, v40
	v_add_f16_e32 v95, v96, v95
	v_fma_f16 v96, v86, s26, -v87
	v_or_b32_e32 v73, v73, v2
	v_add_f16_e32 v72, v72, v44
	v_fma_f16 v100, v89, s22, -v99
	v_add_f16_e32 v95, v96, v95
	v_fma_f16 v96, v89, s27, -v90
	v_lshl_add_u32 v73, v73, 1, 0
	v_add_f16_e32 v94, v100, v94
	v_add_f16_e32 v95, v96, v95
	ds_write_b16 v73, v72
	ds_write_b16 v73, v27 offset:8
	ds_write_b16 v73, v93 offset:16
	ds_write_b16 v73, v91 offset:24
	ds_write_b16 v73, v85 offset:32
	ds_write_b16 v73, v79 offset:40
	ds_write_b16 v73, v75 offset:48
	ds_write_b16 v73, v76 offset:56
	ds_write_b16 v73, v82 offset:64
	ds_write_b16 v73, v88 offset:72
	ds_write_b16 v73, v92 offset:80
	ds_write_b16 v73, v94 offset:88
	ds_write_b16 v73, v95 offset:96
.LBB0_19:
	s_or_b64 exec, exec, s[4:5]
	v_add_f16_e32 v27, v46, v68
	v_add_f16_e32 v27, v27, v64
	;; [unrolled: 1-line block ×13, first 2 shown]
	v_sub_f16_e32 v67, v67, v69
	v_mul_f16_e32 v68, 0x3b15, v27
	v_mul_f16_e32 v70, 0x388b, v27
	;; [unrolled: 1-line block ×6, first 2 shown]
	v_fma_f16 v69, v67, s18, v68
	v_fma_f16 v68, v67, s8, v68
	v_fma_f16 v73, v67, s20, v70
	v_fma_f16 v70, v67, s7, v70
	v_fma_f16 v75, v67, s16, v74
	v_fma_f16 v74, v67, s6, v74
	v_fma_f16 v77, v67, s19, v76
	v_fma_f16 v76, v67, s9, v76
	v_fma_f16 v79, v67, s17, v78
	v_fma_f16 v78, v67, s14, v78
	v_fma_f16 v80, v67, s21, v27
	v_fma_f16 v27, v67, s15, v27
	v_add_f16_e32 v69, v46, v69
	v_add_f16_e32 v68, v46, v68
	v_add_f16_e32 v73, v46, v73
	v_add_f16_e32 v70, v46, v70
	v_add_f16_e32 v75, v46, v75
	v_add_f16_e32 v74, v46, v74
	v_add_f16_e32 v77, v46, v77
	v_add_f16_e32 v76, v46, v76
	v_add_f16_e32 v79, v46, v79
	v_add_f16_e32 v78, v46, v78
	v_add_f16_e32 v80, v46, v80
	v_add_f16_e32 v27, v46, v27
	v_add_f16_e32 v46, v64, v66
	v_sub_f16_e32 v63, v63, v65
	v_mul_f16_e32 v64, 0x388b, v46
	v_fma_f16 v65, v63, s20, v64
	v_fma_f16 v64, v63, s7, v64
	v_mul_f16_e32 v66, 0xb5ac, v46
	v_add_f16_e32 v64, v64, v68
	v_fma_f16 v67, v63, s19, v66
	v_fma_f16 v66, v63, s9, v66
	v_mul_f16_e32 v68, 0xbbc4, v46
	v_add_f16_e32 v65, v65, v69
	v_add_f16_e32 v66, v66, v70
	v_fma_f16 v69, v63, s21, v68
	v_fma_f16 v68, v63, s15, v68
	v_mul_f16_e32 v70, 0xb9fd, v46
	v_add_f16_e32 v67, v67, v73
	v_add_f16_e32 v68, v68, v74
	v_fma_f16 v73, v63, s14, v70
	v_fma_f16 v70, v63, s17, v70
	v_mul_f16_e32 v74, 0x2fb7, v46
	v_mul_f16_e32 v46, 0x3b15, v46
	v_add_f16_e32 v70, v70, v76
	v_fma_f16 v76, v63, s8, v46
	v_fma_f16 v46, v63, s18, v46
	v_add_f16_e32 v27, v46, v27
	v_add_f16_e32 v46, v60, v62
	v_sub_f16_e32 v59, v59, v61
	v_mul_f16_e32 v60, 0x2fb7, v46
	v_fma_f16 v61, v59, s16, v60
	v_fma_f16 v60, v59, s6, v60
	v_mul_f16_e32 v62, 0xbbc4, v46
	v_add_f16_e32 v69, v69, v75
	v_fma_f16 v75, v63, s6, v74
	v_fma_f16 v74, v63, s16, v74
	v_add_f16_e32 v60, v60, v64
	v_fma_f16 v63, v59, s21, v62
	v_fma_f16 v62, v59, s15, v62
	v_mul_f16_e32 v64, 0xb5ac, v46
	v_add_f16_e32 v61, v61, v65
	v_add_f16_e32 v62, v62, v66
	v_fma_f16 v65, v59, s9, v64
	v_fma_f16 v64, v59, s19, v64
	v_mul_f16_e32 v66, 0x3b15, v46
	v_add_f16_e32 v63, v63, v67
	v_add_f16_e32 v64, v64, v68
	v_fma_f16 v67, v59, s8, v66
	v_fma_f16 v66, v59, s18, v66
	v_mul_f16_e32 v68, 0x388b, v46
	v_mul_f16_e32 v46, 0xb9fd, v46
	v_add_f16_e32 v66, v66, v70
	v_fma_f16 v70, v59, s17, v46
	v_fma_f16 v46, v59, s14, v46
	v_add_f16_e32 v27, v46, v27
	v_add_f16_e32 v46, v56, v58
	v_sub_f16_e32 v55, v55, v57
	v_mul_f16_e32 v56, 0xb5ac, v46
	v_fma_f16 v57, v55, s19, v56
	v_fma_f16 v56, v55, s9, v56
	v_mul_f16_e32 v58, 0xb9fd, v46
	v_add_f16_e32 v65, v65, v69
	v_fma_f16 v69, v59, s20, v68
	v_fma_f16 v68, v59, s7, v68
	v_add_f16_e32 v56, v56, v60
	v_fma_f16 v59, v55, s14, v58
	v_fma_f16 v58, v55, s17, v58
	v_mul_f16_e32 v60, 0x3b15, v46
	v_add_f16_e32 v57, v57, v61
	v_add_f16_e32 v58, v58, v62
	v_fma_f16 v61, v55, s8, v60
	v_fma_f16 v60, v55, s18, v60
	v_mul_f16_e32 v62, 0x2fb7, v46
	v_add_f16_e32 v59, v59, v63
	v_add_f16_e32 v60, v60, v64
	v_fma_f16 v63, v55, s16, v62
	v_fma_f16 v62, v55, s6, v62
	v_mul_f16_e32 v64, 0xbbc4, v46
	v_mul_f16_e32 v46, 0x388b, v46
	v_add_f16_e32 v62, v62, v66
	v_fma_f16 v66, v55, s7, v46
	v_fma_f16 v46, v55, s20, v46
	v_add_f16_e32 v27, v46, v27
	v_add_f16_e32 v46, v52, v54
	v_sub_f16_e32 v51, v51, v53
	v_mul_f16_e32 v52, 0xb9fd, v46
	v_fma_f16 v53, v51, s17, v52
	v_fma_f16 v52, v51, s14, v52
	v_mul_f16_e32 v54, 0x2fb7, v46
	v_add_f16_e32 v61, v61, v65
	v_fma_f16 v65, v55, s15, v64
	v_fma_f16 v64, v55, s21, v64
	v_add_f16_e32 v52, v52, v56
	v_fma_f16 v55, v51, s6, v54
	v_fma_f16 v54, v51, s16, v54
	v_mul_f16_e32 v56, 0x388b, v46
	v_add_f16_e32 v53, v53, v57
	v_add_f16_e32 v54, v54, v58
	v_fma_f16 v57, v51, s20, v56
	v_fma_f16 v56, v51, s7, v56
	v_mul_f16_e32 v58, 0xbbc4, v46
	v_add_f16_e32 v55, v55, v59
	v_add_f16_e32 v56, v56, v60
	v_fma_f16 v59, v51, s15, v58
	v_fma_f16 v58, v51, s21, v58
	v_mul_f16_e32 v60, 0x3b15, v46
	v_mul_f16_e32 v46, 0xb5ac, v46
	v_add_f16_e32 v58, v58, v62
	v_fma_f16 v62, v51, s19, v46
	v_fma_f16 v46, v51, s9, v46
	v_add_f16_e32 v27, v46, v27
	v_add_f16_e32 v46, v48, v50
	;; [unrolled: 1-line block ×3, first 2 shown]
	v_sub_f16_e32 v47, v47, v49
	v_mul_f16_e32 v48, 0xbbc4, v46
	v_add_f16_e32 v75, v75, v79
	v_add_f16_e32 v70, v70, v76
	v_fma_f16 v49, v47, s21, v48
	v_fma_f16 v48, v47, s15, v48
	v_add_f16_e32 v69, v69, v75
	v_add_f16_e32 v66, v66, v70
	;; [unrolled: 1-line block ×3, first 2 shown]
	v_mul_f16_e32 v48, 0x3b15, v46
	v_add_f16_e32 v74, v74, v78
	v_add_f16_e32 v65, v65, v69
	;; [unrolled: 1-line block ×3, first 2 shown]
	v_fma_f16 v49, v47, s8, v48
	v_fma_f16 v48, v47, s18, v48
	v_add_f16_e32 v73, v73, v77
	v_add_f16_e32 v68, v68, v74
	;; [unrolled: 1-line block ×3, first 2 shown]
	v_mul_f16_e32 v48, 0xb9fd, v46
	v_add_f16_e32 v67, v67, v73
	v_add_f16_e32 v73, v49, v55
	v_fma_f16 v49, v47, s17, v48
	v_fma_f16 v48, v47, s14, v48
	v_add_f16_e32 v57, v57, v61
	v_add_f16_e32 v76, v48, v56
	v_mul_f16_e32 v48, 0x388b, v46
	v_add_f16_e32 v63, v63, v67
	v_add_f16_e32 v75, v49, v57
	v_fma_f16 v49, v47, s7, v48
	v_fma_f16 v48, v47, s20, v48
	v_add_f16_e32 v64, v64, v68
	v_add_f16_e32 v59, v59, v63
	v_fma_f16 v61, v51, s8, v60
	v_fma_f16 v60, v51, s18, v60
	v_add_f16_e32 v78, v48, v58
	v_mul_f16_e32 v48, 0xb5ac, v46
	v_add_f16_e32 v60, v60, v64
	v_add_f16_e32 v77, v49, v59
	v_fma_f16 v49, v47, s19, v48
	v_fma_f16 v48, v47, s9, v48
	v_mul_f16_e32 v46, 0x2fb7, v46
	v_add_f16_e32 v61, v61, v65
	v_add_f16_e32 v62, v62, v66
	;; [unrolled: 1-line block ×3, first 2 shown]
	v_fma_f16 v48, v47, s6, v46
	v_fma_f16 v46, v47, s16, v46
	v_add_f16_e32 v79, v49, v61
	v_add_f16_e32 v81, v48, v62
	;; [unrolled: 1-line block ×3, first 2 shown]
	s_waitcnt lgkmcnt(0)
	; wave barrier
	s_waitcnt lgkmcnt(0)
	ds_read_u16 v62, v0 offset:1352
	ds_read_u16 v60, v0 offset:1456
	;; [unrolled: 1-line block ×3, first 2 shown]
	ds_read_u16 v56, v0
	ds_read_u16 v55, v0 offset:104
	ds_read_u16 v54, v0 offset:208
	;; [unrolled: 1-line block ×20, first 2 shown]
	s_waitcnt lgkmcnt(0)
	; wave barrier
	s_waitcnt lgkmcnt(0)
	ds_write_b16 v71, v72
	ds_write_b16 v71, v69 offset:8
	ds_write_b16 v71, v73 offset:16
	;; [unrolled: 1-line block ×12, first 2 shown]
	s_and_saveexec_b64 s[4:5], s[0:1]
	s_cbranch_execz .LBB0_21
; %bb.20:
	v_add_f16_e32 v69, v12, v43
	v_add_f16_e32 v69, v69, v39
	v_add_f16_e32 v69, v69, v35
	v_add_f16_e32 v69, v69, v31
	v_add_f16_e32 v69, v69, v26
	v_add_f16_e32 v69, v69, v22
	v_add_f16_e32 v69, v69, v24
	v_add_f16_e32 v69, v69, v29
	v_add_f16_e32 v69, v69, v33
	v_add_f16_e32 v69, v69, v37
	v_add_f16_e32 v43, v43, v45
	v_add_f16_e32 v69, v69, v41
	v_sub_f16_e32 v42, v42, v44
	v_mul_f16_e32 v44, 0x3b15, v43
	s_movk_i32 s0, 0x3770
	s_mov_b32 s1, 0xb770
	v_mul_f16_e32 v70, 0x388b, v43
	s_movk_i32 s6, 0x3a95
	v_mul_f16_e32 v72, 0x2fb7, v43
	s_movk_i32 s8, 0x3bf1
	s_mov_b32 s9, 0xbbf1
	v_mul_f16_e32 v74, 0xb5ac, v43
	s_movk_i32 s14, 0x3b7b
	s_mov_b32 s15, 0xbb7b
	;; [unrolled: 3-line block ×4, first 2 shown]
	v_add_f16_e32 v39, v39, v41
	v_add_f16_e32 v69, v69, v45
	v_fma_f16 v45, v42, s0, v44
	v_fma_f16 v44, v42, s1, v44
	;; [unrolled: 1-line block ×12, first 2 shown]
	v_sub_f16_e32 v38, v38, v40
	v_mul_f16_e32 v40, 0x388b, v39
	v_add_f16_e32 v45, v12, v45
	v_add_f16_e32 v44, v12, v44
	;; [unrolled: 1-line block ×12, first 2 shown]
	v_fma_f16 v41, v38, s6, v40
	v_fma_f16 v40, v38, s7, v40
	v_mul_f16_e32 v42, 0xb5ac, v39
	v_add_f16_e32 v40, v40, v44
	v_fma_f16 v43, v38, s14, v42
	v_fma_f16 v42, v38, s15, v42
	v_mul_f16_e32 v44, 0xbbc4, v39
	v_add_f16_e32 v41, v41, v45
	v_add_f16_e32 v42, v42, v70
	v_fma_f16 v45, v38, s18, v44
	v_fma_f16 v44, v38, s19, v44
	v_mul_f16_e32 v70, 0xb9fd, v39
	v_add_f16_e32 v43, v43, v71
	v_add_f16_e32 v44, v44, v72
	v_fma_f16 v71, v38, s17, v70
	v_fma_f16 v70, v38, s16, v70
	v_mul_f16_e32 v72, 0x2fb7, v39
	v_mul_f16_e32 v39, 0x3b15, v39
	v_add_f16_e32 v35, v35, v37
	v_add_f16_e32 v45, v45, v73
	v_add_f16_e32 v70, v70, v74
	v_fma_f16 v73, v38, s9, v72
	v_fma_f16 v72, v38, s8, v72
	v_fma_f16 v74, v38, s1, v39
	v_fma_f16 v38, v38, s0, v39
	v_sub_f16_e32 v34, v34, v36
	v_mul_f16_e32 v36, 0x2fb7, v35
	v_add_f16_e32 v12, v38, v12
	v_fma_f16 v37, v34, s8, v36
	v_fma_f16 v36, v34, s9, v36
	v_mul_f16_e32 v38, 0xbbc4, v35
	v_add_f16_e32 v36, v36, v40
	v_fma_f16 v39, v34, s18, v38
	v_fma_f16 v38, v34, s19, v38
	v_mul_f16_e32 v40, 0xb5ac, v35
	v_add_f16_e32 v37, v37, v41
	v_add_f16_e32 v38, v38, v42
	v_fma_f16 v41, v34, s15, v40
	v_fma_f16 v40, v34, s14, v40
	v_mul_f16_e32 v42, 0x3b15, v35
	v_add_f16_e32 v39, v39, v43
	v_add_f16_e32 v40, v40, v44
	v_fma_f16 v43, v34, s1, v42
	v_fma_f16 v42, v34, s0, v42
	v_mul_f16_e32 v44, 0x388b, v35
	v_mul_f16_e32 v35, 0xb9fd, v35
	v_add_f16_e32 v31, v31, v33
	v_add_f16_e32 v41, v41, v45
	v_add_f16_e32 v42, v42, v70
	v_fma_f16 v45, v34, s6, v44
	v_fma_f16 v44, v34, s7, v44
	v_fma_f16 v70, v34, s16, v35
	v_fma_f16 v34, v34, s17, v35
	v_sub_f16_e32 v30, v30, v32
	v_mul_f16_e32 v32, 0xb5ac, v31
	v_add_f16_e32 v12, v34, v12
	v_fma_f16 v33, v30, s14, v32
	v_fma_f16 v32, v30, s15, v32
	v_mul_f16_e32 v34, 0xb9fd, v31
	v_add_f16_e32 v32, v32, v36
	v_fma_f16 v35, v30, s17, v34
	v_fma_f16 v34, v30, s16, v34
	v_mul_f16_e32 v36, 0x3b15, v31
	v_add_f16_e32 v33, v33, v37
	v_add_f16_e32 v34, v34, v38
	v_fma_f16 v37, v30, s1, v36
	v_fma_f16 v36, v30, s0, v36
	v_mul_f16_e32 v38, 0x2fb7, v31
	v_add_f16_e32 v35, v35, v39
	v_add_f16_e32 v36, v36, v40
	v_fma_f16 v39, v30, s8, v38
	v_fma_f16 v38, v30, s9, v38
	v_mul_f16_e32 v40, 0xbbc4, v31
	v_mul_f16_e32 v31, 0x388b, v31
	v_add_f16_e32 v26, v26, v29
	v_add_f16_e32 v37, v37, v41
	v_add_f16_e32 v38, v38, v42
	v_fma_f16 v41, v30, s19, v40
	v_fma_f16 v40, v30, s18, v40
	v_fma_f16 v42, v30, s7, v31
	v_fma_f16 v30, v30, s6, v31
	v_sub_f16_e32 v25, v25, v28
	v_mul_f16_e32 v28, 0xb9fd, v26
	v_add_f16_e32 v12, v30, v12
	v_fma_f16 v29, v25, s16, v28
	v_fma_f16 v28, v25, s17, v28
	v_mul_f16_e32 v30, 0x2fb7, v26
	v_add_f16_e32 v28, v28, v32
	v_fma_f16 v31, v25, s9, v30
	v_fma_f16 v30, v25, s8, v30
	v_mul_f16_e32 v32, 0x388b, v26
	v_add_f16_e32 v29, v29, v33
	v_add_f16_e32 v30, v30, v34
	v_fma_f16 v33, v25, s6, v32
	v_fma_f16 v32, v25, s7, v32
	v_mul_f16_e32 v34, 0xbbc4, v26
	v_add_f16_e32 v31, v31, v35
	v_add_f16_e32 v32, v32, v36
	v_fma_f16 v35, v25, s19, v34
	v_fma_f16 v34, v25, s18, v34
	v_mul_f16_e32 v36, 0x3b15, v26
	v_mul_f16_e32 v26, 0xb5ac, v26
	v_add_f16_e32 v22, v22, v24
	v_add_f16_e32 v33, v33, v37
	v_add_f16_e32 v34, v34, v38
	v_fma_f16 v37, v25, s1, v36
	v_fma_f16 v36, v25, s0, v36
	v_fma_f16 v38, v25, s14, v26
	v_fma_f16 v25, v25, s15, v26
	v_sub_f16_e32 v21, v21, v23
	v_mul_f16_e32 v23, 0xbbc4, v22
	v_add_f16_e32 v12, v25, v12
	v_fma_f16 v24, v21, s18, v23
	v_fma_f16 v23, v21, s19, v23
	v_mul_f16_e32 v25, 0x3b15, v22
	v_add_f16_e32 v71, v71, v75
	v_add_f16_e32 v73, v73, v77
	;; [unrolled: 1-line block ×5, first 2 shown]
	v_fma_f16 v26, v21, s1, v25
	v_fma_f16 v25, v21, s0, v25
	v_mul_f16_e32 v28, 0xb9fd, v22
	v_add_f16_e32 v43, v43, v71
	v_add_f16_e32 v45, v45, v73
	;; [unrolled: 1-line block ×6, first 2 shown]
	v_fma_f16 v29, v21, s16, v28
	v_fma_f16 v28, v21, s17, v28
	v_mul_f16_e32 v30, 0x388b, v22
	v_mul_u32_u24_e32 v11, 52, v11
	v_add_f16_e32 v39, v39, v43
	v_add_f16_e32 v41, v41, v45
	;; [unrolled: 1-line block ×6, first 2 shown]
	v_fma_f16 v31, v21, s7, v30
	v_fma_f16 v30, v21, s6, v30
	v_mul_f16_e32 v32, 0xb5ac, v22
	v_mul_f16_e32 v22, 0x2fb7, v22
	v_or_b32_e32 v2, v11, v2
	v_add_f16_e32 v35, v35, v39
	v_add_f16_e32 v37, v37, v41
	;; [unrolled: 1-line block ×6, first 2 shown]
	v_fma_f16 v33, v21, s14, v32
	v_fma_f16 v32, v21, s15, v32
	;; [unrolled: 1-line block ×4, first 2 shown]
	v_lshl_add_u32 v2, v2, 1, 0
	v_add_f16_e32 v31, v31, v35
	v_add_f16_e32 v33, v33, v37
	;; [unrolled: 1-line block ×5, first 2 shown]
	ds_write_b16 v2, v69
	ds_write_b16 v2, v24 offset:8
	ds_write_b16 v2, v26 offset:16
	;; [unrolled: 1-line block ×12, first 2 shown]
.LBB0_21:
	s_or_b64 exec, exec, s[4:5]
	v_mov_b32_e32 v2, 0
	v_lshlrev_b64 v[11:12], 2, v[1:2]
	v_mov_b32_e32 v21, s13
	v_add_co_u32_e64 v11, s[0:1], s12, v11
	v_addc_co_u32_e64 v12, s[0:1], v21, v12, s[0:1]
	s_movk_i32 s0, 0x4f
	v_mul_lo_u16_sdwa v22, v20, s0 dst_sel:DWORD dst_unused:UNUSED_PAD src0_sel:BYTE_0 src1_sel:DWORD
	v_lshrrev_b16_e32 v22, 12, v22
	s_waitcnt lgkmcnt(0)
	; wave barrier
	s_waitcnt lgkmcnt(0)
	v_mul_lo_u16_e32 v22, 52, v22
	v_mul_lo_u16_sdwa v23, v19, s0 dst_sel:DWORD dst_unused:UNUSED_PAD src0_sel:BYTE_0 src1_sel:DWORD
	global_load_dword v29, v[11:12], off offset:200
	v_sub_u16_e32 v20, v20, v22
	v_lshrrev_b16_e32 v23, 12, v23
	v_and_b32_e32 v20, 0xff, v20
	v_mul_lo_u16_e32 v23, 52, v23
	s_movk_i32 s0, 0x4ec5
	v_lshlrev_b32_e32 v22, 2, v20
	v_sub_u16_e32 v19, v19, v23
	v_mul_u32_u24_sdwa v24, v16, s0 dst_sel:DWORD dst_unused:UNUSED_PAD src0_sel:WORD_0 src1_sel:DWORD
	v_and_b32_e32 v19, 0xff, v19
	v_lshrrev_b32_e32 v25, 20, v24
	v_mul_u32_u24_sdwa v28, v15, s0 dst_sel:DWORD dst_unused:UNUSED_PAD src0_sel:WORD_0 src1_sel:DWORD
	global_load_dword v22, v22, s[12:13] offset:200
	v_lshlrev_b32_e32 v23, 2, v19
	global_load_dword v23, v23, s[12:13] offset:200
	v_mul_lo_u16_e32 v25, 52, v25
	v_lshrrev_b32_e32 v30, 20, v28
	v_mul_u32_u24_sdwa v32, v14, s0 dst_sel:DWORD dst_unused:UNUSED_PAD src0_sel:WORD_0 src1_sel:DWORD
	v_sub_u16_e32 v25, v16, v25
	v_mul_lo_u16_e32 v30, 52, v30
	v_lshrrev_b32_e32 v33, 20, v32
	v_mul_u32_u24_sdwa v35, v13, s0 dst_sel:DWORD dst_unused:UNUSED_PAD src0_sel:WORD_0 src1_sel:DWORD
	v_mul_u32_u24_sdwa v38, v18, s0 dst_sel:DWORD dst_unused:UNUSED_PAD src0_sel:WORD_0 src1_sel:DWORD
	v_lshlrev_b32_e32 v26, 2, v25
	global_load_dword v26, v26, s[12:13] offset:200
	v_sub_u16_e32 v30, v15, v30
	v_mul_lo_u16_e32 v33, 52, v33
	v_lshrrev_b32_e32 v36, 20, v35
	v_lshrrev_b32_e32 v38, 20, v38
	v_lshlrev_b32_e32 v31, 2, v30
	global_load_dword v31, v31, s[12:13] offset:200
	v_sub_u16_e32 v33, v14, v33
	v_mul_lo_u16_e32 v36, 52, v36
	v_mul_lo_u16_e32 v38, 52, v38
	v_lshlrev_b32_e32 v34, 2, v33
	v_sub_u16_e32 v36, v13, v36
	v_sub_u16_e32 v18, v18, v38
	v_lshlrev_b32_e32 v37, 2, v36
	v_lshlrev_b32_e32 v38, 2, v18
	global_load_dword v39, v34, s[12:13] offset:200
	global_load_dword v40, v37, s[12:13] offset:200
	;; [unrolled: 1-line block ×3, first 2 shown]
	v_mul_u32_u24_sdwa v34, v17, s0 dst_sel:DWORD dst_unused:UNUSED_PAD src0_sel:WORD_0 src1_sel:DWORD
	v_lshrrev_b32_e32 v34, 20, v34
	v_mul_lo_u16_e32 v34, 52, v34
	v_mul_u32_u24_sdwa v37, v10, s0 dst_sel:DWORD dst_unused:UNUSED_PAD src0_sel:WORD_0 src1_sel:DWORD
	v_sub_u16_e32 v17, v17, v34
	v_lshrrev_b32_e32 v37, 20, v37
	v_lshlrev_b32_e32 v34, 2, v17
	v_mul_lo_u16_e32 v37, 52, v37
	v_mul_u32_u24_sdwa v38, v8, s0 dst_sel:DWORD dst_unused:UNUSED_PAD src0_sel:WORD_0 src1_sel:DWORD
	v_sub_u16_e32 v10, v10, v37
	global_load_dword v34, v34, s[12:13] offset:200
	v_lshrrev_b32_e32 v38, 20, v38
	v_lshlrev_b32_e32 v37, 2, v10
	global_load_dword v37, v37, s[12:13] offset:200
	v_mul_lo_u16_e32 v38, 52, v38
	v_sub_u16_e32 v8, v8, v38
	v_lshlrev_b32_e32 v38, 2, v8
	global_load_dword v38, v38, s[12:13] offset:200
	ds_read_u16 v42, v0 offset:1352
	ds_read_u16 v43, v0 offset:1456
	;; [unrolled: 1-line block ×3, first 2 shown]
	ds_read_u16 v45, v0
	ds_read_u16 v69, v0 offset:104
	ds_read_u16 v70, v0 offset:208
	ds_read_u16 v71, v0 offset:312
	ds_read_u16 v72, v0 offset:416
	ds_read_u16 v73, v0 offset:520
	ds_read_u16 v74, v0 offset:624
	ds_read_u16 v75, v0 offset:728
	ds_read_u16 v76, v0 offset:832
	ds_read_u16 v77, v0 offset:936
	ds_read_u16 v78, v0 offset:1040
	ds_read_u16 v79, v0 offset:1248
	ds_read_u16 v80, v0 offset:1144
	ds_read_u16 v81, v0 offset:1664
	ds_read_u16 v82, v0 offset:1768
	ds_read_u16 v83, v0 offset:1872
	ds_read_u16 v84, v0 offset:1976
	ds_read_u16 v85, v0 offset:2080
	ds_read_u16 v86, v0 offset:2184
	ds_read_u16 v87, v0 offset:2288
	ds_read_u16 v88, v0 offset:2392
	v_lshl_add_u32 v20, v20, 1, 0
	v_lshl_add_u32 v19, v19, 1, 0
	;; [unrolled: 1-line block ×10, first 2 shown]
	s_waitcnt lgkmcnt(0)
	; wave barrier
	s_waitcnt vmcnt(10) lgkmcnt(0)
	v_mul_f16_sdwa v89, v79, v29 dst_sel:DWORD dst_unused:UNUSED_PAD src0_sel:DWORD src1_sel:WORD_1
	v_fma_f16 v89, v68, v29, v89
	v_mul_f16_sdwa v68, v68, v29 dst_sel:DWORD dst_unused:UNUSED_PAD src0_sel:DWORD src1_sel:WORD_1
	v_fma_f16 v68, v79, v29, -v68
	v_mul_f16_sdwa v79, v42, v29 dst_sel:DWORD dst_unused:UNUSED_PAD src0_sel:DWORD src1_sel:WORD_1
	v_fma_f16 v79, v62, v29, v79
	v_mul_f16_sdwa v62, v62, v29 dst_sel:DWORD dst_unused:UNUSED_PAD src0_sel:DWORD src1_sel:WORD_1
	v_fma_f16 v29, v42, v29, -v62
	v_sub_f16_e32 v29, v69, v29
	s_waitcnt vmcnt(9)
	v_mul_f16_sdwa v42, v43, v22 dst_sel:DWORD dst_unused:UNUSED_PAD src0_sel:DWORD src1_sel:WORD_1
	v_fma_f16 v42, v60, v22, v42
	v_mul_f16_sdwa v60, v60, v22 dst_sel:DWORD dst_unused:UNUSED_PAD src0_sel:DWORD src1_sel:WORD_1
	v_fma_f16 v22, v43, v22, -v60
	s_waitcnt vmcnt(8)
	v_mul_f16_sdwa v43, v44, v23 dst_sel:DWORD dst_unused:UNUSED_PAD src0_sel:DWORD src1_sel:WORD_1
	v_fma_f16 v43, v59, v23, v43
	v_mul_f16_sdwa v59, v59, v23 dst_sel:DWORD dst_unused:UNUSED_PAD src0_sel:DWORD src1_sel:WORD_1
	v_fma_f16 v23, v44, v23, -v59
	v_sub_f16_e32 v42, v54, v42
	v_sub_f16_e32 v43, v53, v43
	;; [unrolled: 1-line block ×3, first 2 shown]
	v_fma_f16 v54, v54, 2.0, -v42
	s_waitcnt vmcnt(7)
	v_mul_f16_sdwa v44, v81, v26 dst_sel:DWORD dst_unused:UNUSED_PAD src0_sel:DWORD src1_sel:WORD_1
	v_mul_f16_sdwa v59, v67, v26 dst_sel:DWORD dst_unused:UNUSED_PAD src0_sel:DWORD src1_sel:WORD_1
	v_fma_f16 v44, v67, v26, v44
	v_fma_f16 v26, v81, v26, -v59
	v_sub_f16_e32 v44, v52, v44
	v_sub_f16_e32 v23, v71, v23
	s_waitcnt vmcnt(6)
	v_mul_f16_sdwa v59, v82, v31 dst_sel:DWORD dst_unused:UNUSED_PAD src0_sel:DWORD src1_sel:WORD_1
	v_mul_f16_sdwa v60, v66, v31 dst_sel:DWORD dst_unused:UNUSED_PAD src0_sel:DWORD src1_sel:WORD_1
	v_fma_f16 v59, v66, v31, v59
	v_fma_f16 v31, v82, v31, -v60
	v_sub_f16_e32 v66, v55, v79
	v_sub_f16_e32 v59, v51, v59
	v_fma_f16 v55, v55, 2.0, -v66
	s_waitcnt vmcnt(5)
	v_mul_f16_sdwa v60, v83, v39 dst_sel:DWORD dst_unused:UNUSED_PAD src0_sel:DWORD src1_sel:WORD_1
	v_mul_f16_sdwa v62, v65, v39 dst_sel:DWORD dst_unused:UNUSED_PAD src0_sel:DWORD src1_sel:WORD_1
	v_fma_f16 v60, v65, v39, v60
	v_fma_f16 v39, v83, v39, -v62
	s_waitcnt vmcnt(4)
	v_mul_f16_sdwa v62, v84, v40 dst_sel:DWORD dst_unused:UNUSED_PAD src0_sel:DWORD src1_sel:WORD_1
	v_fma_f16 v62, v64, v40, v62
	v_mul_f16_sdwa v64, v64, v40 dst_sel:DWORD dst_unused:UNUSED_PAD src0_sel:DWORD src1_sel:WORD_1
	v_fma_f16 v40, v84, v40, -v64
	s_waitcnt vmcnt(3)
	v_mul_f16_sdwa v64, v85, v41 dst_sel:DWORD dst_unused:UNUSED_PAD src0_sel:DWORD src1_sel:WORD_1
	v_fma_f16 v64, v63, v41, v64
	v_mul_f16_sdwa v63, v63, v41 dst_sel:DWORD dst_unused:UNUSED_PAD src0_sel:DWORD src1_sel:WORD_1
	v_fma_f16 v41, v85, v41, -v63
	v_sub_f16_e32 v65, v45, v68
	s_waitcnt vmcnt(2)
	v_mul_f16_sdwa v63, v86, v34 dst_sel:DWORD dst_unused:UNUSED_PAD src0_sel:DWORD src1_sel:WORD_1
	v_fma_f16 v63, v61, v34, v63
	v_mul_f16_sdwa v61, v61, v34 dst_sel:DWORD dst_unused:UNUSED_PAD src0_sel:DWORD src1_sel:WORD_1
	v_fma_f16 v34, v86, v34, -v61
	s_waitcnt vmcnt(1)
	v_mul_f16_sdwa v61, v87, v37 dst_sel:DWORD dst_unused:UNUSED_PAD src0_sel:DWORD src1_sel:WORD_1
	v_fma_f16 v61, v58, v37, v61
	v_mul_f16_sdwa v58, v58, v37 dst_sel:DWORD dst_unused:UNUSED_PAD src0_sel:DWORD src1_sel:WORD_1
	v_fma_f16 v37, v87, v37, -v58
	;; [unrolled: 5-line block ×3, first 2 shown]
	v_sub_f16_e32 v57, v56, v89
	v_sub_f16_e32 v60, v50, v60
	;; [unrolled: 1-line block ×7, first 2 shown]
	v_fma_f16 v56, v56, 2.0, -v57
	v_fma_f16 v45, v45, 2.0, -v65
	;; [unrolled: 1-line block ×3, first 2 shown]
	v_sub_f16_e32 v26, v72, v26
	v_fma_f16 v52, v52, 2.0, -v44
	v_sub_f16_e32 v31, v73, v31
	v_fma_f16 v51, v51, 2.0, -v59
	;; [unrolled: 2-line block ×8, first 2 shown]
	v_fma_f16 v67, v69, 2.0, -v29
	v_fma_f16 v68, v70, 2.0, -v22
	;; [unrolled: 1-line block ×11, first 2 shown]
	ds_write_b16 v0, v56
	ds_write_b16 v0, v57 offset:104
	ds_write_b16 v0, v55 offset:208
	;; [unrolled: 1-line block ×23, first 2 shown]
	s_waitcnt lgkmcnt(0)
	; wave barrier
	s_waitcnt lgkmcnt(0)
	ds_read_u16 v27, v0
	ds_read_u16 v42, v0 offset:104
	ds_read_u16 v43, v0 offset:208
	;; [unrolled: 1-line block ×23, first 2 shown]
	s_waitcnt lgkmcnt(0)
	; wave barrier
	s_waitcnt lgkmcnt(0)
	ds_write_b16 v0, v45
	ds_write_b16 v0, v65 offset:104
	ds_write_b16 v0, v67 offset:208
	;; [unrolled: 1-line block ×23, first 2 shown]
	v_mov_b32_e32 v8, v2
	v_lshlrev_b64 v[7:8], 2, v[7:8]
	v_mov_b32_e32 v10, v2
	v_add_co_u32_e64 v7, s[0:1], s12, v7
	v_addc_co_u32_e64 v8, s[0:1], v21, v8, s[0:1]
	s_waitcnt lgkmcnt(0)
	; wave barrier
	s_waitcnt lgkmcnt(0)
	global_load_dwordx2 v[7:8], v[7:8], off offset:408
	v_lshlrev_b64 v[9:10], 2, v[9:10]
	v_lshrrev_b32_e32 v17, 21, v24
	v_add_co_u32_e64 v9, s[0:1], s12, v9
	v_addc_co_u32_e64 v10, s[0:1], v21, v10, s[0:1]
	global_load_dwordx2 v[9:10], v[9:10], off offset:408
	v_mul_lo_u16_e32 v17, 0x68, v17
	v_sub_u16_e32 v22, v16, v17
	v_lshrrev_b32_e32 v18, 21, v28
	v_lshrrev_b32_e32 v20, 21, v35
	v_lshlrev_b32_e32 v16, 3, v22
	v_mul_lo_u16_e32 v18, 0x68, v18
	v_mul_lo_u16_e32 v20, 0x68, v20
	global_load_dwordx2 v[16:17], v16, s[12:13] offset:408
	v_sub_u16_e32 v23, v15, v18
	v_sub_u16_e32 v13, v13, v20
	v_lshlrev_b32_e32 v15, 3, v23
	v_lshlrev_b32_e32 v20, 3, v13
	global_load_dwordx2 v[18:19], v15, s[12:13] offset:408
	s_mov_b32 s0, 0xbaee
	global_load_dwordx2 v[20:21], v20, s[12:13] offset:408
	v_lshrrev_b32_e32 v15, 21, v32
	v_mul_lo_u16_e32 v15, 0x68, v15
	v_sub_u16_e32 v24, v14, v15
	v_lshlrev_b32_e32 v14, 3, v24
	global_load_dwordx2 v[14:15], v14, s[12:13] offset:408
	ds_read_u16 v25, v0
	ds_read_u16 v26, v0 offset:104
	ds_read_u16 v28, v0 offset:208
	;; [unrolled: 1-line block ×23, first 2 shown]
	s_movk_i32 s1, 0x3aee
	s_waitcnt lgkmcnt(0)
	; wave barrier
	s_waitcnt lgkmcnt(0)
	v_lshl_add_u32 v13, v13, 1, 0
	s_waitcnt vmcnt(5)
	v_mul_f16_sdwa v73, v34, v7 dst_sel:DWORD dst_unused:UNUSED_PAD src0_sel:DWORD src1_sel:WORD_1
	v_fma_f16 v73, v50, v7, v73
	v_mul_f16_sdwa v50, v50, v7 dst_sel:DWORD dst_unused:UNUSED_PAD src0_sel:DWORD src1_sel:WORD_1
	v_fma_f16 v34, v34, v7, -v50
	v_mul_f16_sdwa v50, v45, v8 dst_sel:DWORD dst_unused:UNUSED_PAD src0_sel:DWORD src1_sel:WORD_1
	v_fma_f16 v50, v58, v8, v50
	v_mul_f16_sdwa v58, v58, v8 dst_sel:DWORD dst_unused:UNUSED_PAD src0_sel:DWORD src1_sel:WORD_1
	v_fma_f16 v45, v45, v8, -v58
	s_waitcnt vmcnt(4)
	v_mul_f16_sdwa v58, v35, v9 dst_sel:DWORD dst_unused:UNUSED_PAD src0_sel:DWORD src1_sel:WORD_1
	v_fma_f16 v58, v51, v9, v58
	v_mul_f16_sdwa v51, v51, v9 dst_sel:DWORD dst_unused:UNUSED_PAD src0_sel:DWORD src1_sel:WORD_1
	v_fma_f16 v35, v35, v9, -v51
	v_mul_f16_sdwa v51, v65, v10 dst_sel:DWORD dst_unused:UNUSED_PAD src0_sel:DWORD src1_sel:WORD_1
	v_fma_f16 v51, v59, v10, v51
	v_mul_f16_sdwa v59, v59, v10 dst_sel:DWORD dst_unused:UNUSED_PAD src0_sel:DWORD src1_sel:WORD_1
	v_fma_f16 v59, v65, v10, -v59
	;; [unrolled: 4-line block ×3, first 2 shown]
	v_mul_f16_sdwa v36, v67, v8 dst_sel:DWORD dst_unused:UNUSED_PAD src0_sel:DWORD src1_sel:WORD_1
	v_mul_f16_sdwa v52, v60, v8 dst_sel:DWORD dst_unused:UNUSED_PAD src0_sel:DWORD src1_sel:WORD_1
	v_fma_f16 v36, v60, v8, v36
	v_fma_f16 v8, v67, v8, -v52
	v_mul_f16_sdwa v52, v37, v9 dst_sel:DWORD dst_unused:UNUSED_PAD src0_sel:DWORD src1_sel:WORD_1
	v_fma_f16 v52, v53, v9, v52
	v_mul_f16_sdwa v53, v53, v9 dst_sel:DWORD dst_unused:UNUSED_PAD src0_sel:DWORD src1_sel:WORD_1
	v_fma_f16 v9, v37, v9, -v53
	v_mul_f16_sdwa v37, v68, v10 dst_sel:DWORD dst_unused:UNUSED_PAD src0_sel:DWORD src1_sel:WORD_1
	v_mul_f16_sdwa v53, v61, v10 dst_sel:DWORD dst_unused:UNUSED_PAD src0_sel:DWORD src1_sel:WORD_1
	v_fma_f16 v37, v61, v10, v37
	v_fma_f16 v10, v68, v10, -v53
	s_waitcnt vmcnt(3)
	v_mul_f16_sdwa v53, v38, v16 dst_sel:DWORD dst_unused:UNUSED_PAD src0_sel:DWORD src1_sel:WORD_1
	v_fma_f16 v53, v54, v16, v53
	v_mul_f16_sdwa v54, v54, v16 dst_sel:DWORD dst_unused:UNUSED_PAD src0_sel:DWORD src1_sel:WORD_1
	v_fma_f16 v16, v38, v16, -v54
	v_mul_f16_sdwa v38, v69, v17 dst_sel:DWORD dst_unused:UNUSED_PAD src0_sel:DWORD src1_sel:WORD_1
	v_mul_f16_sdwa v54, v62, v17 dst_sel:DWORD dst_unused:UNUSED_PAD src0_sel:DWORD src1_sel:WORD_1
	v_fma_f16 v38, v62, v17, v38
	v_fma_f16 v17, v69, v17, -v54
	s_waitcnt vmcnt(2)
	;; [unrolled: 9-line block ×3, first 2 shown]
	v_mul_f16_sdwa v55, v40, v14 dst_sel:DWORD dst_unused:UNUSED_PAD src0_sel:DWORD src1_sel:WORD_1
	v_fma_f16 v55, v56, v14, v55
	v_mul_f16_sdwa v56, v56, v14 dst_sel:DWORD dst_unused:UNUSED_PAD src0_sel:DWORD src1_sel:WORD_1
	v_fma_f16 v14, v40, v14, -v56
	v_mul_f16_sdwa v40, v71, v15 dst_sel:DWORD dst_unused:UNUSED_PAD src0_sel:DWORD src1_sel:WORD_1
	v_mul_f16_sdwa v56, v64, v15 dst_sel:DWORD dst_unused:UNUSED_PAD src0_sel:DWORD src1_sel:WORD_1
	v_fma_f16 v40, v64, v15, v40
	v_fma_f16 v15, v71, v15, -v56
	v_mul_f16_sdwa v56, v41, v20 dst_sel:DWORD dst_unused:UNUSED_PAD src0_sel:DWORD src1_sel:WORD_1
	v_fma_f16 v56, v57, v20, v56
	v_mul_f16_sdwa v57, v57, v20 dst_sel:DWORD dst_unused:UNUSED_PAD src0_sel:DWORD src1_sel:WORD_1
	v_fma_f16 v20, v41, v20, -v57
	v_mul_f16_sdwa v41, v72, v21 dst_sel:DWORD dst_unused:UNUSED_PAD src0_sel:DWORD src1_sel:WORD_1
	v_mul_f16_sdwa v57, v66, v21 dst_sel:DWORD dst_unused:UNUSED_PAD src0_sel:DWORD src1_sel:WORD_1
	v_add_f16_e32 v60, v73, v50
	v_fma_f16 v41, v66, v21, v41
	v_fma_f16 v21, v72, v21, -v57
	v_add_f16_e32 v57, v27, v73
	v_fma_f16 v27, v60, -0.5, v27
	v_sub_f16_e32 v60, v34, v45
	v_fma_f16 v61, v60, s0, v27
	v_fma_f16 v27, v60, s1, v27
	v_add_f16_e32 v60, v25, v34
	v_add_f16_e32 v34, v34, v45
	;; [unrolled: 1-line block ×3, first 2 shown]
	v_fma_f16 v25, v34, -0.5, v25
	v_sub_f16_e32 v34, v73, v50
	v_add_f16_e32 v50, v58, v51
	v_add_f16_e32 v60, v60, v45
	v_fma_f16 v45, v34, s1, v25
	v_fma_f16 v25, v34, s0, v25
	v_add_f16_e32 v34, v42, v58
	v_fma_f16 v42, v50, -0.5, v42
	v_sub_f16_e32 v50, v35, v59
	v_fma_f16 v62, v50, s0, v42
	v_fma_f16 v42, v50, s1, v42
	v_add_f16_e32 v50, v26, v35
	v_add_f16_e32 v35, v35, v59
	v_fma_f16 v26, v35, -0.5, v26
	v_sub_f16_e32 v35, v58, v51
	v_add_f16_e32 v58, v65, v36
	v_add_f16_e32 v34, v34, v51
	v_fma_f16 v51, v35, s1, v26
	v_fma_f16 v26, v35, s0, v26
	v_add_f16_e32 v35, v43, v65
	v_fma_f16 v43, v58, -0.5, v43
	v_sub_f16_e32 v58, v7, v8
	v_add_f16_e32 v50, v50, v59
	v_fma_f16 v59, v58, s0, v43
	v_fma_f16 v43, v58, s1, v43
	v_add_f16_e32 v58, v28, v7
	v_add_f16_e32 v7, v7, v8
	v_add_f16_e32 v35, v35, v36
	v_add_f16_e32 v58, v58, v8
	v_fma_f16 v7, v7, -0.5, v28
	v_sub_f16_e32 v8, v65, v36
	v_add_f16_e32 v36, v52, v37
	v_fma_f16 v28, v8, s1, v7
	v_fma_f16 v7, v8, s0, v7
	v_add_f16_e32 v8, v44, v52
	v_fma_f16 v36, v36, -0.5, v44
	v_sub_f16_e32 v44, v9, v10
	v_fma_f16 v63, v44, s0, v36
	v_fma_f16 v36, v44, s1, v36
	v_add_f16_e32 v44, v29, v9
	v_add_f16_e32 v9, v9, v10
	v_add_f16_e32 v8, v8, v37
	v_add_f16_e32 v44, v44, v10
	v_fma_f16 v9, v9, -0.5, v29
	v_sub_f16_e32 v10, v52, v37
	v_add_f16_e32 v37, v53, v38
	v_fma_f16 v29, v10, s1, v9
	v_fma_f16 v9, v10, s0, v9
	v_add_f16_e32 v10, v46, v53
	v_fma_f16 v37, v37, -0.5, v46
	v_sub_f16_e32 v46, v16, v17
	;; [unrolled: 14-line block ×5, first 2 shown]
	ds_write_b16 v0, v57
	ds_write_b16 v0, v61 offset:208
	ds_write_b16 v0, v27 offset:416
	;; [unrolled: 1-line block ×11, first 2 shown]
	v_lshl_add_u32 v8, v22, 1, 0
	v_fma_f16 v55, v49, s0, v40
	v_fma_f16 v40, v49, s1, v40
	v_add_f16_e32 v49, v33, v20
	v_add_f16_e32 v20, v20, v21
	ds_write_b16 v8, v10 offset:1248
	ds_write_b16 v8, v52 offset:1456
	;; [unrolled: 1-line block ×3, first 2 shown]
	v_lshl_add_u32 v10, v23, 1, 0
	v_add_f16_e32 v15, v15, v41
	v_add_f16_e32 v49, v49, v21
	v_fma_f16 v20, v20, -0.5, v33
	v_sub_f16_e32 v21, v56, v41
	ds_write_b16 v10, v17 offset:1248
	ds_write_b16 v10, v53 offset:1456
	;; [unrolled: 1-line block ×3, first 2 shown]
	v_lshl_add_u32 v17, v24, 1, 0
	v_fma_f16 v33, v21, s1, v20
	v_fma_f16 v20, v21, s0, v20
	ds_write_b16 v17, v19 offset:1872
	ds_write_b16 v17, v54 offset:2080
	;; [unrolled: 1-line block ×6, first 2 shown]
	s_waitcnt lgkmcnt(0)
	; wave barrier
	s_waitcnt lgkmcnt(0)
	ds_read_u16 v15, v0 offset:1352
	ds_read_u16 v19, v0 offset:1456
	;; [unrolled: 1-line block ×3, first 2 shown]
	ds_read_u16 v22, v0
	ds_read_u16 v23, v0 offset:104
	ds_read_u16 v24, v0 offset:208
	;; [unrolled: 1-line block ×20, first 2 shown]
	s_waitcnt lgkmcnt(0)
	; wave barrier
	s_waitcnt lgkmcnt(0)
	ds_write_b16 v0, v60
	ds_write_b16 v0, v45 offset:208
	ds_write_b16 v0, v25 offset:416
	ds_write_b16 v0, v50 offset:104
	ds_write_b16 v0, v51 offset:312
	ds_write_b16 v0, v26 offset:520
	ds_write_b16 v0, v58 offset:624
	ds_write_b16 v0, v28 offset:832
	ds_write_b16 v0, v7 offset:1040
	ds_write_b16 v0, v44 offset:728
	ds_write_b16 v0, v29 offset:936
	ds_write_b16 v0, v9 offset:1144
	ds_write_b16 v8, v46 offset:1248
	ds_write_b16 v8, v30 offset:1456
	ds_write_b16 v8, v16 offset:1664
	ds_write_b16 v10, v47 offset:1248
	ds_write_b16 v10, v31 offset:1456
	ds_write_b16 v10, v18 offset:1664
	ds_write_b16 v17, v48 offset:1872
	ds_write_b16 v17, v32 offset:2080
	ds_write_b16 v17, v14 offset:2288
	ds_write_b16 v13, v49 offset:1872
	ds_write_b16 v13, v33 offset:2080
	ds_write_b16 v13, v20 offset:2288
	s_waitcnt lgkmcnt(0)
	; wave barrier
	s_waitcnt lgkmcnt(0)
	global_load_dword v7, v[11:12], off offset:1240
	global_load_dword v8, v[11:12], off offset:1448
	;; [unrolled: 1-line block ×6, first 2 shown]
	ds_read_u16 v16, v0 offset:1352
	ds_read_u16 v17, v0 offset:1456
	;; [unrolled: 1-line block ×3, first 2 shown]
	ds_read_u16 v20, v0
	ds_read_u16 v25, v0 offset:104
	ds_read_u16 v26, v0 offset:208
	;; [unrolled: 1-line block ×20, first 2 shown]
	s_waitcnt lgkmcnt(0)
	; wave barrier
	s_waitcnt vmcnt(5) lgkmcnt(0)
	v_mul_f16_sdwa v63, v46, v7 dst_sel:DWORD dst_unused:UNUSED_PAD src0_sel:DWORD src1_sel:WORD_1
	v_fma_f16 v63, v41, v7, v63
	v_mul_f16_sdwa v41, v41, v7 dst_sel:DWORD dst_unused:UNUSED_PAD src0_sel:DWORD src1_sel:WORD_1
	v_fma_f16 v41, v46, v7, -v41
	s_waitcnt vmcnt(4)
	v_mul_f16_sdwa v46, v16, v8 dst_sel:DWORD dst_unused:UNUSED_PAD src0_sel:DWORD src1_sel:WORD_1
	v_fma_f16 v46, v15, v8, v46
	v_mul_f16_sdwa v15, v15, v8 dst_sel:DWORD dst_unused:UNUSED_PAD src0_sel:DWORD src1_sel:WORD_1
	v_fma_f16 v15, v16, v8, -v15
	s_waitcnt vmcnt(3)
	;; [unrolled: 5-line block ×5, first 2 shown]
	v_mul_f16_sdwa v48, v49, v14 dst_sel:DWORD dst_unused:UNUSED_PAD src0_sel:DWORD src1_sel:WORD_1
	v_fma_f16 v48, v52, v14, v48
	v_mul_f16_sdwa v52, v52, v14 dst_sel:DWORD dst_unused:UNUSED_PAD src0_sel:DWORD src1_sel:WORD_1
	v_fma_f16 v49, v49, v14, -v52
	v_mul_f16_sdwa v52, v50, v7 dst_sel:DWORD dst_unused:UNUSED_PAD src0_sel:DWORD src1_sel:WORD_1
	v_fma_f16 v52, v53, v7, v52
	v_mul_f16_sdwa v53, v53, v7 dst_sel:DWORD dst_unused:UNUSED_PAD src0_sel:DWORD src1_sel:WORD_1
	v_fma_f16 v7, v50, v7, -v53
	v_mul_f16_sdwa v50, v51, v8 dst_sel:DWORD dst_unused:UNUSED_PAD src0_sel:DWORD src1_sel:WORD_1
	v_mul_f16_sdwa v53, v54, v8 dst_sel:DWORD dst_unused:UNUSED_PAD src0_sel:DWORD src1_sel:WORD_1
	v_fma_f16 v50, v54, v8, v50
	v_fma_f16 v8, v51, v8, -v53
	v_mul_f16_sdwa v51, v58, v9 dst_sel:DWORD dst_unused:UNUSED_PAD src0_sel:DWORD src1_sel:WORD_1
	v_mul_f16_sdwa v53, v55, v9 dst_sel:DWORD dst_unused:UNUSED_PAD src0_sel:DWORD src1_sel:WORD_1
	v_fma_f16 v51, v55, v9, v51
	;; [unrolled: 4-line block ×4, first 2 shown]
	v_fma_f16 v13, v61, v13, -v55
	v_mul_f16_sdwa v55, v62, v14 dst_sel:DWORD dst_unused:UNUSED_PAD src0_sel:DWORD src1_sel:WORD_1
	v_mul_f16_sdwa v56, v59, v14 dst_sel:DWORD dst_unused:UNUSED_PAD src0_sel:DWORD src1_sel:WORD_1
	v_sub_f16_e32 v41, v20, v41
	v_sub_f16_e32 v61, v28, v18
	v_fma_f16 v55, v59, v14, v55
	v_fma_f16 v14, v62, v14, -v56
	v_fma_f16 v57, v20, 2.0, -v41
	v_sub_f16_e32 v20, v23, v46
	v_sub_f16_e32 v16, v24, v16
	;; [unrolled: 1-line block ×3, first 2 shown]
	v_fma_f16 v62, v28, 2.0, -v61
	v_sub_f16_e32 v21, v34, v21
	v_sub_f16_e32 v43, v29, v43
	;; [unrolled: 1-line block ×4, first 2 shown]
	v_fma_f16 v15, v23, 2.0, -v20
	v_fma_f16 v17, v24, 2.0, -v16
	v_fma_f16 v60, v26, 2.0, -v59
	v_sub_f16_e32 v19, v27, v19
	v_fma_f16 v23, v34, 2.0, -v21
	v_fma_f16 v34, v29, 2.0, -v43
	v_sub_f16_e32 v24, v35, v48
	v_sub_f16_e32 v48, v30, v49
	;; [unrolled: 1-line block ×5, first 2 shown]
	v_fma_f16 v9, v38, 2.0, -v28
	v_sub_f16_e32 v29, v39, v53
	v_sub_f16_e32 v38, v44, v10
	;; [unrolled: 1-line block ×3, first 2 shown]
	v_fma_f16 v58, v25, 2.0, -v46
	v_fma_f16 v18, v27, 2.0, -v19
	v_fma_f16 v25, v35, 2.0, -v24
	v_fma_f16 v35, v30, 2.0, -v48
	v_fma_f16 v7, v36, 2.0, -v26
	v_fma_f16 v36, v31, 2.0, -v49
	v_sub_f16_e32 v27, v37, v50
	v_fma_f16 v10, v39, 2.0, -v29
	v_fma_f16 v39, v44, 2.0, -v38
	v_sub_f16_e32 v30, v40, v54
	v_sub_f16_e32 v44, v45, v13
	;; [unrolled: 1-line block ×3, first 2 shown]
	v_fma_f16 v22, v22, 2.0, -v56
	v_sub_f16_e32 v50, v32, v8
	v_fma_f16 v8, v37, 2.0, -v27
	v_fma_f16 v13, v40, 2.0, -v30
	;; [unrolled: 1-line block ×3, first 2 shown]
	v_sub_f16_e32 v45, v47, v14
	v_fma_f16 v14, v42, 2.0, -v31
	v_fma_f16 v37, v32, 2.0, -v50
	ds_write_b16 v0, v22
	ds_write_b16 v0, v56 offset:624
	ds_write_b16 v0, v15 offset:104
	;; [unrolled: 1-line block ×23, first 2 shown]
	s_waitcnt lgkmcnt(0)
	; wave barrier
	s_waitcnt lgkmcnt(0)
	ds_read_u16 v8, v0 offset:1352
	ds_read_u16 v13, v0 offset:1456
	;; [unrolled: 1-line block ×3, first 2 shown]
	ds_read_u16 v7, v0
	ds_read_u16 v9, v0 offset:104
	ds_read_u16 v14, v0 offset:208
	;; [unrolled: 1-line block ×20, first 2 shown]
	v_fma_f16 v33, v33, 2.0, -v51
	v_fma_f16 v42, v47, 2.0, -v45
	s_waitcnt lgkmcnt(0)
	; wave barrier
	s_waitcnt lgkmcnt(0)
	ds_write_b16 v0, v57
	ds_write_b16 v0, v41 offset:624
	ds_write_b16 v0, v58 offset:104
	;; [unrolled: 1-line block ×23, first 2 shown]
	s_waitcnt lgkmcnt(0)
	; wave barrier
	s_waitcnt lgkmcnt(0)
	s_and_saveexec_b64 s[0:1], vcc
	s_cbranch_execz .LBB0_23
; %bb.22:
	v_add_co_u32_e32 v33, vcc, 0x1000, v11
	global_load_dword v35, v[11:12], off offset:3944
	global_load_dword v36, v[11:12], off offset:3736
	v_addc_co_u32_e32 v34, vcc, 0, v12, vcc
	global_load_dword v37, v[33:34], off offset:680
	global_load_dword v38, v[33:34], off offset:472
	;; [unrolled: 1-line block ×6, first 2 shown]
	ds_read_u16 v43, v0 offset:1560
	ds_read_u16 v44, v0 offset:1456
	;; [unrolled: 1-line block ×8, first 2 shown]
	global_load_dword v51, v[11:12], off offset:3112
	ds_read_u16 v52, v0 offset:2392
	ds_read_u16 v53, v0 offset:2288
	;; [unrolled: 1-line block ×8, first 2 shown]
	global_load_dword v60, v[11:12], off offset:2904
	global_load_dword v61, v[11:12], off offset:2696
	;; [unrolled: 1-line block ×3, first 2 shown]
	v_mul_lo_u32 v33, s3, v5
	v_mul_lo_u32 v34, s2, v6
	v_mad_u64_u32 v[5:6], s[0:1], s2, v5, 0
	ds_read_u16 v11, v0 offset:1872
	s_mov_b32 s0, 0x1a41a41b
	v_add3_u32 v6, v6, v34, v33
	ds_read_u16 v34, v0 offset:1768
	v_lshlrev_b64 v[5:6], 2, v[5:6]
	v_lshlrev_b64 v[3:4], 2, v[3:4]
	v_add_co_u32_e32 v5, vcc, s10, v5
	s_movk_i32 s1, 0x4e0
	s_waitcnt vmcnt(11) lgkmcnt(5)
	v_mul_f16_sdwa v12, v35, v56 dst_sel:DWORD dst_unused:UNUSED_PAD src0_sel:WORD_1 src1_sel:DWORD
	v_mul_f16_sdwa v33, v32, v35 dst_sel:DWORD dst_unused:UNUSED_PAD src0_sel:DWORD src1_sel:WORD_1
	v_fma_f16 v12, v32, v35, v12
	v_fma_f16 v32, v35, v56, -v33
	s_waitcnt vmcnt(9)
	v_mul_f16_sdwa v33, v37, v52 dst_sel:DWORD dst_unused:UNUSED_PAD src0_sel:WORD_1 src1_sel:DWORD
	v_mul_f16_sdwa v35, v30, v37 dst_sel:DWORD dst_unused:UNUSED_PAD src0_sel:DWORD src1_sel:WORD_1
	s_waitcnt vmcnt(8)
	v_mul_f16_sdwa v56, v29, v38 dst_sel:DWORD dst_unused:UNUSED_PAD src0_sel:DWORD src1_sel:WORD_1
	s_waitcnt vmcnt(6)
	v_mul_f16_sdwa v66, v27, v40 dst_sel:DWORD dst_unused:UNUSED_PAD src0_sel:DWORD src1_sel:WORD_1
	v_fma_f16 v30, v30, v37, v33
	v_fma_f16 v33, v37, v52, -v35
	v_fma_f16 v35, v38, v53, -v56
	;; [unrolled: 1-line block ×3, first 2 shown]
	v_mul_f16_sdwa v65, v40, v55 dst_sel:DWORD dst_unused:UNUSED_PAD src0_sel:WORD_1 src1_sel:DWORD
	v_sub_f16_e32 v35, v48, v35
	v_sub_f16_e32 v37, v50, v37
	v_fma_f16 v27, v27, v40, v65
	v_fma_f16 v40, v48, 2.0, -v35
	v_fma_f16 v48, v50, 2.0, -v37
	ds_read_u16 v50, v0 offset:1664
	s_waitcnt vmcnt(5) lgkmcnt(1)
	v_mul_f16_sdwa v52, v41, v34 dst_sel:DWORD dst_unused:UNUSED_PAD src0_sel:WORD_1 src1_sel:DWORD
	v_mul_f16_sdwa v63, v36, v11 dst_sel:DWORD dst_unused:UNUSED_PAD src0_sel:WORD_1 src1_sel:DWORD
	v_mul_f16_sdwa v64, v31, v36 dst_sel:DWORD dst_unused:UNUSED_PAD src0_sel:DWORD src1_sel:WORD_1
	v_fma_f16 v52, v20, v41, v52
	v_mul_f16_sdwa v20, v20, v41 dst_sel:DWORD dst_unused:UNUSED_PAD src0_sel:DWORD src1_sel:WORD_1
	v_fma_f16 v31, v31, v36, v63
	v_fma_f16 v11, v36, v11, -v64
	v_mul_f16_sdwa v36, v38, v53 dst_sel:DWORD dst_unused:UNUSED_PAD src0_sel:WORD_1 src1_sel:DWORD
	v_fma_f16 v20, v41, v34, -v20
	ds_read_u16 v34, v0 offset:416
	s_waitcnt vmcnt(4) lgkmcnt(1)
	v_mul_f16_sdwa v53, v42, v50 dst_sel:DWORD dst_unused:UNUSED_PAD src0_sel:WORD_1 src1_sel:DWORD
	v_fma_f16 v53, v19, v42, v53
	v_mul_f16_sdwa v19, v19, v42 dst_sel:DWORD dst_unused:UNUSED_PAD src0_sel:DWORD src1_sel:WORD_1
	v_fma_f16 v19, v42, v50, -v19
	ds_read_u16 v42, v0 offset:312
	s_waitcnt vmcnt(3)
	v_mul_f16_sdwa v50, v51, v43 dst_sel:DWORD dst_unused:UNUSED_PAD src0_sel:WORD_1 src1_sel:DWORD
	v_fma_f16 v50, v15, v51, v50
	v_mul_f16_sdwa v15, v15, v51 dst_sel:DWORD dst_unused:UNUSED_PAD src0_sel:DWORD src1_sel:WORD_1
	v_fma_f16 v15, v51, v43, -v15
	ds_read_u16 v43, v0 offset:208
	s_waitcnt vmcnt(2)
	v_mul_f16_sdwa v51, v60, v44 dst_sel:DWORD dst_unused:UNUSED_PAD src0_sel:WORD_1 src1_sel:DWORD
	v_mul_f16_sdwa v64, v28, v39 dst_sel:DWORD dst_unused:UNUSED_PAD src0_sel:DWORD src1_sel:WORD_1
	v_fma_f16 v51, v13, v60, v51
	v_mul_f16_sdwa v13, v13, v60 dst_sel:DWORD dst_unused:UNUSED_PAD src0_sel:DWORD src1_sel:WORD_1
	v_lshrrev_b32_e32 v55, 4, v1
	v_mul_f16_sdwa v63, v39, v54 dst_sel:DWORD dst_unused:UNUSED_PAD src0_sel:WORD_1 src1_sel:DWORD
	v_fma_f16 v29, v29, v38, v36
	v_fma_f16 v36, v39, v54, -v64
	v_fma_f16 v13, v60, v44, -v13
	ds_read_u16 v44, v0 offset:104
	s_waitcnt vmcnt(1)
	v_mul_f16_sdwa v54, v61, v45 dst_sel:DWORD dst_unused:UNUSED_PAD src0_sel:WORD_1 src1_sel:DWORD
	ds_read_u16 v0, v0
	v_mul_hi_u32 v55, v55, s0
	v_fma_f16 v54, v8, v61, v54
	v_mul_f16_sdwa v8, v8, v61 dst_sel:DWORD dst_unused:UNUSED_PAD src0_sel:DWORD src1_sel:WORD_1
	v_fma_f16 v8, v61, v45, -v8
	s_waitcnt vmcnt(0)
	v_mul_f16_sdwa v45, v62, v46 dst_sel:DWORD dst_unused:UNUSED_PAD src0_sel:WORD_1 src1_sel:DWORD
	v_fma_f16 v45, v10, v62, v45
	v_mul_f16_sdwa v10, v10, v62 dst_sel:DWORD dst_unused:UNUSED_PAD src0_sel:DWORD src1_sel:WORD_1
	v_fma_f16 v10, v62, v46, -v10
	v_lshrrev_b32_e32 v46, 2, v55
	v_mov_b32_e32 v55, s11
	v_sub_f16_e32 v45, v7, v45
	s_waitcnt lgkmcnt(0)
	v_sub_f16_e32 v10, v0, v10
	v_addc_co_u32_e32 v6, vcc, v55, v6, vcc
	v_fma_f16 v7, v7, 2.0, -v45
	v_fma_f16 v0, v0, 2.0, -v10
	v_mul_u32_u24_e32 v46, 0x270, v46
	v_add_co_u32_e32 v55, vcc, v5, v3
	v_add_u32_e32 v5, 52, v1
	v_sub_u32_e32 v46, v1, v46
	v_pack_b32_f16 v0, v7, v0
	v_lshrrev_b32_e32 v7, 4, v5
	v_addc_co_u32_e32 v6, vcc, v6, v4, vcc
	v_lshlrev_b32_e32 v3, 2, v46
	v_mul_hi_u32 v7, v7, s0
	v_add_co_u32_e32 v3, vcc, v55, v3
	v_addc_co_u32_e32 v4, vcc, 0, v6, vcc
	global_store_dword v[3:4], v0, off
	v_pack_b32_f16 v0, v45, v10
	global_store_dword v[3:4], v0, off offset:2496
	v_lshrrev_b32_e32 v0, 2, v7
	v_mul_u32_u24_e32 v3, 0x270, v0
	v_sub_u32_e32 v3, v5, v3
	v_mad_u32_u24 v3, v0, s1, v3
	v_mov_b32_e32 v4, v2
	v_lshlrev_b64 v[4:5], 2, v[3:4]
	v_sub_f16_e32 v54, v9, v54
	v_sub_f16_e32 v8, v44, v8
	v_fma_f16 v9, v9, 2.0, -v54
	v_fma_f16 v44, v44, 2.0, -v8
	v_add_co_u32_e32 v4, vcc, v55, v4
	v_addc_co_u32_e32 v5, vcc, v6, v5, vcc
	v_pack_b32_f16 v0, v9, v44
	global_store_dword v[4:5], v0, off
	v_add_u32_e32 v0, 0x68, v1
	v_add_u32_e32 v3, 0x270, v3
	v_mov_b32_e32 v4, v2
	v_lshrrev_b32_e32 v5, 4, v0
	v_lshlrev_b64 v[3:4], 2, v[3:4]
	v_mul_hi_u32 v5, v5, s0
	v_add_co_u32_e32 v3, vcc, v55, v3
	v_addc_co_u32_e32 v4, vcc, v6, v4, vcc
	v_pack_b32_f16 v7, v54, v8
	global_store_dword v[3:4], v7, off
	v_lshrrev_b32_e32 v3, 2, v5
	v_mul_u32_u24_e32 v4, 0x270, v3
	v_sub_u32_e32 v0, v0, v4
	v_mad_u32_u24 v3, v3, s1, v0
	v_mov_b32_e32 v4, v2
	v_lshlrev_b64 v[4:5], 2, v[3:4]
	v_sub_f16_e32 v51, v14, v51
	v_sub_f16_e32 v13, v43, v13
	v_fma_f16 v14, v14, 2.0, -v51
	v_fma_f16 v43, v43, 2.0, -v13
	v_add_co_u32_e32 v4, vcc, v55, v4
	v_addc_co_u32_e32 v5, vcc, v6, v5, vcc
	v_pack_b32_f16 v0, v14, v43
	global_store_dword v[4:5], v0, off
	v_add_u32_e32 v0, 0x9c, v1
	v_add_u32_e32 v3, 0x270, v3
	v_mov_b32_e32 v4, v2
	v_lshrrev_b32_e32 v5, 4, v0
	v_lshlrev_b64 v[3:4], 2, v[3:4]
	v_mul_hi_u32 v5, v5, s0
	v_add_co_u32_e32 v3, vcc, v55, v3
	v_addc_co_u32_e32 v4, vcc, v6, v4, vcc
	v_pack_b32_f16 v7, v51, v13
	global_store_dword v[3:4], v7, off
	;; [unrolled: 24-line block ×5, first 2 shown]
	v_lshrrev_b32_e32 v3, 2, v5
	v_mul_u32_u24_e32 v4, 0x270, v3
	v_sub_u32_e32 v0, v0, v4
	v_mad_u32_u24 v3, v3, s1, v0
	v_mov_b32_e32 v4, v2
	v_lshlrev_b64 v[4:5], 2, v[3:4]
	v_sub_f16_e32 v31, v24, v31
	v_sub_f16_e32 v33, v47, v33
	;; [unrolled: 1-line block ×4, first 2 shown]
	v_fma_f16 v28, v28, v39, v63
	v_fma_f16 v24, v24, 2.0, -v31
	v_fma_f16 v39, v47, 2.0, -v33
	;; [unrolled: 1-line block ×4, first 2 shown]
	v_add_co_u32_e32 v4, vcc, v55, v4
	v_addc_co_u32_e32 v5, vcc, v6, v5, vcc
	v_pack_b32_f16 v0, v24, v49
	global_store_dword v[4:5], v0, off
	v_add_u32_e32 v0, 0x16c, v1
	v_add_u32_e32 v3, 0x270, v3
	v_mov_b32_e32 v4, v2
	v_lshrrev_b32_e32 v5, 4, v0
	v_lshlrev_b64 v[3:4], 2, v[3:4]
	v_mul_hi_u32 v5, v5, s0
	v_add_co_u32_e32 v3, vcc, v55, v3
	v_addc_co_u32_e32 v4, vcc, v6, v4, vcc
	v_pack_b32_f16 v7, v31, v11
	global_store_dword v[3:4], v7, off
	v_lshrrev_b32_e32 v3, 2, v5
	v_mul_u32_u24_e32 v4, 0x270, v3
	v_sub_u32_e32 v0, v0, v4
	v_mad_u32_u24 v3, v3, s1, v0
	v_mov_b32_e32 v4, v2
	v_lshlrev_b64 v[4:5], 2, v[3:4]
	v_sub_f16_e32 v12, v26, v12
	v_sub_f16_e32 v32, v57, v32
	v_fma_f16 v26, v26, 2.0, -v12
	v_fma_f16 v38, v57, 2.0, -v32
	v_add_co_u32_e32 v4, vcc, v55, v4
	v_addc_co_u32_e32 v5, vcc, v6, v5, vcc
	v_pack_b32_f16 v0, v26, v38
	global_store_dword v[4:5], v0, off
	v_add_u32_e32 v0, 0x1a0, v1
	v_add_u32_e32 v3, 0x270, v3
	v_mov_b32_e32 v4, v2
	v_lshrrev_b32_e32 v5, 4, v0
	v_lshlrev_b64 v[3:4], 2, v[3:4]
	v_mul_hi_u32 v5, v5, s0
	v_add_co_u32_e32 v3, vcc, v55, v3
	v_addc_co_u32_e32 v4, vcc, v6, v4, vcc
	v_pack_b32_f16 v7, v12, v32
	global_store_dword v[3:4], v7, off
	v_lshrrev_b32_e32 v3, 2, v5
	v_mul_u32_u24_e32 v4, 0x270, v3
	v_sub_u32_e32 v0, v0, v4
	v_mad_u32_u24 v3, v3, s1, v0
	v_mov_b32_e32 v4, v2
	v_lshlrev_b64 v[4:5], 2, v[3:4]
	v_sub_f16_e32 v27, v21, v27
	v_fma_f16 v21, v21, 2.0, -v27
	v_add_co_u32_e32 v4, vcc, v55, v4
	v_addc_co_u32_e32 v5, vcc, v6, v5, vcc
	v_pack_b32_f16 v0, v21, v48
	global_store_dword v[4:5], v0, off
	v_add_u32_e32 v0, 0x1d4, v1
	v_add_u32_e32 v3, 0x270, v3
	v_mov_b32_e32 v4, v2
	v_lshrrev_b32_e32 v5, 4, v0
	v_lshlrev_b64 v[3:4], 2, v[3:4]
	v_mul_hi_u32 v5, v5, s0
	v_add_co_u32_e32 v3, vcc, v55, v3
	v_addc_co_u32_e32 v4, vcc, v6, v4, vcc
	v_pack_b32_f16 v7, v27, v37
	global_store_dword v[3:4], v7, off
	v_lshrrev_b32_e32 v3, 2, v5
	v_mul_u32_u24_e32 v4, 0x270, v3
	v_sub_u32_e32 v0, v0, v4
	v_mad_u32_u24 v3, v3, s1, v0
	v_mov_b32_e32 v4, v2
	v_lshlrev_b64 v[4:5], 2, v[3:4]
	v_sub_f16_e32 v28, v22, v28
	;; [unrolled: 22-line block ×3, first 2 shown]
	v_fma_f16 v23, v23, 2.0, -v29
	v_add_co_u32_e32 v4, vcc, v55, v4
	v_addc_co_u32_e32 v5, vcc, v6, v5, vcc
	v_pack_b32_f16 v0, v23, v40
	global_store_dword v[4:5], v0, off
	v_add_u32_e32 v5, 0x23c, v1
	v_add_u32_e32 v3, 0x270, v3
	v_mov_b32_e32 v4, v2
	v_lshrrev_b32_e32 v0, 4, v5
	v_lshlrev_b64 v[3:4], 2, v[3:4]
	v_mul_hi_u32 v7, v0, s0
	v_add_co_u32_e32 v0, vcc, v55, v3
	v_addc_co_u32_e32 v1, vcc, v6, v4, vcc
	v_pack_b32_f16 v3, v29, v35
	global_store_dword v[0:1], v3, off
	v_lshrrev_b32_e32 v0, 2, v7
	v_mul_u32_u24_e32 v1, 0x270, v0
	v_sub_u32_e32 v1, v5, v1
	v_mad_u32_u24 v1, v0, s1, v1
	v_lshlrev_b64 v[3:4], 2, v[1:2]
	v_sub_f16_e32 v30, v25, v30
	v_fma_f16 v25, v25, 2.0, -v30
	v_add_co_u32_e32 v3, vcc, v55, v3
	v_addc_co_u32_e32 v4, vcc, v6, v4, vcc
	v_pack_b32_f16 v0, v25, v39
	v_add_u32_e32 v1, 0x270, v1
	global_store_dword v[3:4], v0, off
	v_lshlrev_b64 v[0:1], 2, v[1:2]
	v_pack_b32_f16 v2, v30, v33
	v_add_co_u32_e32 v0, vcc, v55, v0
	v_addc_co_u32_e32 v1, vcc, v6, v1, vcc
	global_store_dword v[0:1], v2, off
.LBB0_23:
	s_endpgm
	.section	.rodata,"a",@progbits
	.p2align	6, 0x0
	.amdhsa_kernel fft_rtc_back_len1248_factors_2_2_13_2_3_2_2_wgs_52_tpt_52_halfLds_half_op_CI_CI_unitstride_sbrr_dirReg
		.amdhsa_group_segment_fixed_size 0
		.amdhsa_private_segment_fixed_size 0
		.amdhsa_kernarg_size 104
		.amdhsa_user_sgpr_count 6
		.amdhsa_user_sgpr_private_segment_buffer 1
		.amdhsa_user_sgpr_dispatch_ptr 0
		.amdhsa_user_sgpr_queue_ptr 0
		.amdhsa_user_sgpr_kernarg_segment_ptr 1
		.amdhsa_user_sgpr_dispatch_id 0
		.amdhsa_user_sgpr_flat_scratch_init 0
		.amdhsa_user_sgpr_private_segment_size 0
		.amdhsa_uses_dynamic_stack 0
		.amdhsa_system_sgpr_private_segment_wavefront_offset 0
		.amdhsa_system_sgpr_workgroup_id_x 1
		.amdhsa_system_sgpr_workgroup_id_y 0
		.amdhsa_system_sgpr_workgroup_id_z 0
		.amdhsa_system_sgpr_workgroup_info 0
		.amdhsa_system_vgpr_workitem_id 0
		.amdhsa_next_free_vgpr 126
		.amdhsa_next_free_sgpr 28
		.amdhsa_reserve_vcc 1
		.amdhsa_reserve_flat_scratch 0
		.amdhsa_float_round_mode_32 0
		.amdhsa_float_round_mode_16_64 0
		.amdhsa_float_denorm_mode_32 3
		.amdhsa_float_denorm_mode_16_64 3
		.amdhsa_dx10_clamp 1
		.amdhsa_ieee_mode 1
		.amdhsa_fp16_overflow 0
		.amdhsa_exception_fp_ieee_invalid_op 0
		.amdhsa_exception_fp_denorm_src 0
		.amdhsa_exception_fp_ieee_div_zero 0
		.amdhsa_exception_fp_ieee_overflow 0
		.amdhsa_exception_fp_ieee_underflow 0
		.amdhsa_exception_fp_ieee_inexact 0
		.amdhsa_exception_int_div_zero 0
	.end_amdhsa_kernel
	.text
.Lfunc_end0:
	.size	fft_rtc_back_len1248_factors_2_2_13_2_3_2_2_wgs_52_tpt_52_halfLds_half_op_CI_CI_unitstride_sbrr_dirReg, .Lfunc_end0-fft_rtc_back_len1248_factors_2_2_13_2_3_2_2_wgs_52_tpt_52_halfLds_half_op_CI_CI_unitstride_sbrr_dirReg
                                        ; -- End function
	.section	.AMDGPU.csdata,"",@progbits
; Kernel info:
; codeLenInByte = 19768
; NumSgprs: 32
; NumVgprs: 126
; ScratchSize: 0
; MemoryBound: 0
; FloatMode: 240
; IeeeMode: 1
; LDSByteSize: 0 bytes/workgroup (compile time only)
; SGPRBlocks: 3
; VGPRBlocks: 31
; NumSGPRsForWavesPerEU: 32
; NumVGPRsForWavesPerEU: 126
; Occupancy: 2
; WaveLimiterHint : 1
; COMPUTE_PGM_RSRC2:SCRATCH_EN: 0
; COMPUTE_PGM_RSRC2:USER_SGPR: 6
; COMPUTE_PGM_RSRC2:TRAP_HANDLER: 0
; COMPUTE_PGM_RSRC2:TGID_X_EN: 1
; COMPUTE_PGM_RSRC2:TGID_Y_EN: 0
; COMPUTE_PGM_RSRC2:TGID_Z_EN: 0
; COMPUTE_PGM_RSRC2:TIDIG_COMP_CNT: 0
	.type	__hip_cuid_83d8716f1e7683c8,@object ; @__hip_cuid_83d8716f1e7683c8
	.section	.bss,"aw",@nobits
	.globl	__hip_cuid_83d8716f1e7683c8
__hip_cuid_83d8716f1e7683c8:
	.byte	0                               ; 0x0
	.size	__hip_cuid_83d8716f1e7683c8, 1

	.ident	"AMD clang version 19.0.0git (https://github.com/RadeonOpenCompute/llvm-project roc-6.4.0 25133 c7fe45cf4b819c5991fe208aaa96edf142730f1d)"
	.section	".note.GNU-stack","",@progbits
	.addrsig
	.addrsig_sym __hip_cuid_83d8716f1e7683c8
	.amdgpu_metadata
---
amdhsa.kernels:
  - .args:
      - .actual_access:  read_only
        .address_space:  global
        .offset:         0
        .size:           8
        .value_kind:     global_buffer
      - .offset:         8
        .size:           8
        .value_kind:     by_value
      - .actual_access:  read_only
        .address_space:  global
        .offset:         16
        .size:           8
        .value_kind:     global_buffer
      - .actual_access:  read_only
        .address_space:  global
        .offset:         24
        .size:           8
        .value_kind:     global_buffer
      - .actual_access:  read_only
        .address_space:  global
        .offset:         32
        .size:           8
        .value_kind:     global_buffer
      - .offset:         40
        .size:           8
        .value_kind:     by_value
      - .actual_access:  read_only
        .address_space:  global
        .offset:         48
        .size:           8
        .value_kind:     global_buffer
      - .actual_access:  read_only
        .address_space:  global
        .offset:         56
        .size:           8
        .value_kind:     global_buffer
      - .offset:         64
        .size:           4
        .value_kind:     by_value
      - .actual_access:  read_only
        .address_space:  global
        .offset:         72
        .size:           8
        .value_kind:     global_buffer
      - .actual_access:  read_only
        .address_space:  global
        .offset:         80
        .size:           8
        .value_kind:     global_buffer
      - .actual_access:  read_only
        .address_space:  global
        .offset:         88
        .size:           8
        .value_kind:     global_buffer
      - .actual_access:  write_only
        .address_space:  global
        .offset:         96
        .size:           8
        .value_kind:     global_buffer
    .group_segment_fixed_size: 0
    .kernarg_segment_align: 8
    .kernarg_segment_size: 104
    .language:       OpenCL C
    .language_version:
      - 2
      - 0
    .max_flat_workgroup_size: 52
    .name:           fft_rtc_back_len1248_factors_2_2_13_2_3_2_2_wgs_52_tpt_52_halfLds_half_op_CI_CI_unitstride_sbrr_dirReg
    .private_segment_fixed_size: 0
    .sgpr_count:     32
    .sgpr_spill_count: 0
    .symbol:         fft_rtc_back_len1248_factors_2_2_13_2_3_2_2_wgs_52_tpt_52_halfLds_half_op_CI_CI_unitstride_sbrr_dirReg.kd
    .uniform_work_group_size: 1
    .uses_dynamic_stack: false
    .vgpr_count:     126
    .vgpr_spill_count: 0
    .wavefront_size: 64
amdhsa.target:   amdgcn-amd-amdhsa--gfx906
amdhsa.version:
  - 1
  - 2
...

	.end_amdgpu_metadata
